;; amdgpu-corpus repo=ROCm/rocFFT kind=compiled arch=gfx1030 opt=O3
	.text
	.amdgcn_target "amdgcn-amd-amdhsa--gfx1030"
	.amdhsa_code_object_version 6
	.protected	bluestein_single_back_len1071_dim1_sp_op_CI_CI ; -- Begin function bluestein_single_back_len1071_dim1_sp_op_CI_CI
	.globl	bluestein_single_back_len1071_dim1_sp_op_CI_CI
	.p2align	8
	.type	bluestein_single_back_len1071_dim1_sp_op_CI_CI,@function
bluestein_single_back_len1071_dim1_sp_op_CI_CI: ; @bluestein_single_back_len1071_dim1_sp_op_CI_CI
; %bb.0:
	s_load_dwordx4 s[0:3], s[4:5], 0x28
	v_mul_u32_u24_e32 v1, 0x227, v0
	v_mov_b32_e32 v85, 0
	v_lshrrev_b32_e32 v1, 16, v1
	v_add_nc_u32_e32 v84, s6, v1
	s_waitcnt lgkmcnt(0)
	v_cmp_gt_u64_e32 vcc_lo, s[0:1], v[84:85]
	s_and_saveexec_b32 s0, vcc_lo
	s_cbranch_execz .LBB0_23
; %bb.1:
	s_clause 0x1
	s_load_dwordx2 s[12:13], s[4:5], 0x0
	s_load_dwordx2 s[14:15], s[4:5], 0x38
	v_mul_lo_u16 v1, 0x77, v1
	v_sub_nc_u16 v0, v0, v1
	v_and_b32_e32 v94, 0xffff, v0
	v_cmp_gt_u16_e32 vcc_lo, 63, v0
	v_lshlrev_b32_e32 v93, 3, v94
	s_and_saveexec_b32 s1, vcc_lo
	s_cbranch_execz .LBB0_3
; %bb.2:
	s_load_dwordx2 s[6:7], s[4:5], 0x18
	s_waitcnt lgkmcnt(0)
	v_add_co_u32 v20, s0, s12, v93
	v_add_co_ci_u32_e64 v21, null, s13, 0, s0
	v_add_nc_u32_e32 v72, 0xc00, v93
	v_add_nc_u32_e32 v73, 0x1000, v93
	;; [unrolled: 1-line block ×4, first 2 shown]
	s_load_dwordx4 s[8:11], s[6:7], 0x0
	s_clause 0x3
	global_load_dwordx2 v[4:5], v93, s[12:13]
	global_load_dwordx2 v[6:7], v93, s[12:13] offset:504
	global_load_dwordx2 v[8:9], v93, s[12:13] offset:1008
	;; [unrolled: 1-line block ×3, first 2 shown]
	s_waitcnt lgkmcnt(0)
	v_mad_u64_u32 v[0:1], null, s10, v84, 0
	v_mad_u64_u32 v[2:3], null, s8, v94, 0
	s_mul_i32 s6, s9, 0x1f8
	s_mul_hi_u32 s7, s8, 0x1f8
	s_add_i32 s7, s7, s6
	v_mad_u64_u32 v[12:13], null, s11, v84, v[1:2]
	global_load_dwordx2 v[13:14], v93, s[12:13] offset:2016
	v_mov_b32_e32 v1, v12
	v_add_nc_u32_e32 v12, 0x400, v93
	v_lshlrev_b64 v[0:1], 3, v[0:1]
	s_waitcnt vmcnt(4)
	v_mad_u64_u32 v[15:16], null, s9, v94, v[3:4]
	v_add_co_u32 v16, s0, 0x800, v20
	v_add_co_ci_u32_e64 v17, s0, 0, v21, s0
	v_add_co_u32 v18, s0, 0x1000, v20
	v_mov_b32_e32 v3, v15
	v_add_co_ci_u32_e64 v19, s0, 0, v21, s0
	v_add_co_u32 v20, s0, 0x1800, v20
	v_add_co_ci_u32_e64 v21, s0, 0, v21, s0
	v_lshlrev_b64 v[2:3], 3, v[2:3]
	v_add_co_u32 v0, s0, s2, v0
	v_add_co_ci_u32_e64 v1, s0, s3, v1, s0
	s_mul_i32 s2, s8, 0x1f8
	v_add_co_u32 v0, s0, v0, v2
	v_add_co_ci_u32_e64 v1, s0, v1, v3, s0
	s_clause 0x3
	global_load_dwordx2 v[22:23], v[16:17], off offset:472
	global_load_dwordx2 v[24:25], v[16:17], off offset:976
	;; [unrolled: 1-line block ×4, first 2 shown]
	v_add_co_u32 v2, s0, v0, s2
	v_add_co_ci_u32_e64 v3, s0, s7, v1, s0
	s_clause 0x3
	global_load_dwordx2 v[30:31], v[18:19], off offset:440
	global_load_dwordx2 v[32:33], v[18:19], off offset:944
	;; [unrolled: 1-line block ×4, first 2 shown]
	v_add_co_u32 v28, s0, v2, s2
	v_add_co_ci_u32_e64 v29, s0, s7, v3, s0
	s_clause 0x1
	global_load_dwordx2 v[38:39], v[20:21], off offset:408
	global_load_dwordx2 v[40:41], v[20:21], off offset:912
	v_add_co_u32 v36, s0, v28, s2
	v_add_co_ci_u32_e64 v37, s0, s7, v29, s0
	v_add_co_u32 v42, s0, v36, s2
	v_add_co_ci_u32_e64 v43, s0, s7, v37, s0
	s_clause 0x3
	global_load_dwordx2 v[0:1], v[0:1], off
	global_load_dwordx2 v[2:3], v[2:3], off
	;; [unrolled: 1-line block ×4, first 2 shown]
	v_add_co_u32 v44, s0, v42, s2
	v_add_co_ci_u32_e64 v45, s0, s7, v43, s0
	global_load_dwordx2 v[42:43], v[42:43], off
	v_add_co_u32 v46, s0, v44, s2
	v_add_co_ci_u32_e64 v47, s0, s7, v45, s0
	global_load_dwordx2 v[44:45], v[44:45], off
	;; [unrolled: 3-line block ×12, first 2 shown]
	s_clause 0x1
	global_load_dwordx2 v[68:69], v[20:21], off offset:1416
	global_load_dwordx2 v[19:20], v[20:21], off offset:1920
	global_load_dwordx2 v[66:67], v[66:67], off
	v_add_nc_u32_e32 v21, 0x800, v93
	s_waitcnt vmcnt(18)
	v_mul_f32_e32 v71, v0, v5
	v_mul_f32_e32 v70, v1, v5
	s_waitcnt vmcnt(17)
	v_mul_f32_e32 v5, v2, v7
	v_fma_f32 v71, v1, v4, -v71
	v_fmac_f32_e32 v70, v0, v4
	v_mul_f32_e32 v0, v3, v7
	v_fma_f32 v1, v3, v6, -v5
	s_waitcnt vmcnt(16)
	v_mul_f32_e32 v4, v28, v9
	v_mul_f32_e32 v3, v29, v9
	s_waitcnt vmcnt(15)
	v_mul_f32_e32 v7, v36, v11
	v_mul_f32_e32 v5, v37, v11
	v_fmac_f32_e32 v0, v2, v6
	v_fma_f32 v4, v29, v8, -v4
	v_fmac_f32_e32 v3, v28, v8
	v_fma_f32 v6, v37, v10, -v7
	v_fmac_f32_e32 v5, v36, v10
	s_waitcnt vmcnt(14)
	v_mul_f32_e32 v7, v42, v14
	ds_write2_b64 v93, v[70:71], v[0:1] offset1:63
	v_mul_f32_e32 v2, v43, v14
	s_waitcnt vmcnt(13)
	v_mul_f32_e32 v1, v44, v23
	ds_write2_b64 v93, v[3:4], v[5:6] offset0:126 offset1:189
	v_fma_f32 v3, v43, v13, -v7
	s_waitcnt vmcnt(12)
	v_mul_f32_e32 v4, v47, v25
	v_mul_f32_e32 v5, v46, v25
	s_waitcnt vmcnt(11)
	v_mul_f32_e32 v6, v49, v27
	v_mul_f32_e32 v7, v48, v27
	;; [unrolled: 1-line block ×3, first 2 shown]
	v_fmac_f32_e32 v4, v46, v24
	v_fma_f32 v5, v47, v24, -v5
	v_fmac_f32_e32 v6, v48, v26
	v_fma_f32 v7, v49, v26, -v7
	;; [unrolled: 2-line block ×3, first 2 shown]
	v_fmac_f32_e32 v0, v44, v22
	s_waitcnt vmcnt(10)
	v_mul_f32_e32 v8, v51, v16
	v_mul_f32_e32 v9, v50, v16
	ds_write2_b64 v21, v[4:5], v[6:7] offset0:122 offset1:185
	ds_write2_b64 v12, v[2:3], v[0:1] offset0:124 offset1:187
	s_waitcnt vmcnt(9)
	v_mul_f32_e32 v0, v53, v31
	v_mul_f32_e32 v1, v52, v31
	s_waitcnt vmcnt(8)
	v_mul_f32_e32 v2, v55, v33
	v_mul_f32_e32 v3, v54, v33
	;; [unrolled: 3-line block ×3, first 2 shown]
	v_fmac_f32_e32 v8, v50, v15
	s_waitcnt vmcnt(6)
	v_mul_f32_e32 v6, v59, v18
	v_mul_f32_e32 v7, v58, v18
	v_fma_f32 v9, v51, v15, -v9
	v_fmac_f32_e32 v0, v52, v30
	v_fma_f32 v1, v53, v30, -v1
	s_waitcnt vmcnt(5)
	v_mul_f32_e32 v10, v61, v39
	v_mul_f32_e32 v11, v60, v39
	v_fmac_f32_e32 v6, v58, v17
	v_fma_f32 v7, v59, v17, -v7
	v_fmac_f32_e32 v2, v54, v32
	s_waitcnt vmcnt(4)
	v_mul_f32_e32 v12, v63, v41
	v_mul_f32_e32 v13, v62, v41
	v_fma_f32 v3, v55, v32, -v3
	s_waitcnt vmcnt(2)
	v_mul_f32_e32 v14, v65, v69
	v_mul_f32_e32 v15, v64, v69
	s_waitcnt vmcnt(0)
	v_mul_f32_e32 v16, v67, v20
	v_mul_f32_e32 v17, v66, v20
	v_fmac_f32_e32 v4, v56, v34
	v_fma_f32 v5, v57, v34, -v5
	v_fmac_f32_e32 v10, v60, v38
	v_fma_f32 v11, v61, v38, -v11
	;; [unrolled: 2-line block ×5, first 2 shown]
	ds_write2_b64 v72, v[8:9], v[0:1] offset0:120 offset1:183
	ds_write2_b64 v73, v[2:3], v[4:5] offset0:118 offset1:181
	ds_write2_b64 v74, v[6:7], v[10:11] offset0:116 offset1:179
	ds_write2_b64 v75, v[12:13], v[14:15] offset0:114 offset1:177
	ds_write_b64 v93, v[16:17] offset:8064
.LBB0_3:
	s_or_b32 exec_lo, exec_lo, s1
	v_mov_b32_e32 v4, 0
	v_mov_b32_e32 v5, 0
	s_waitcnt lgkmcnt(0)
	s_barrier
	buffer_gl0_inv
                                        ; implicit-def: $vgpr16
                                        ; implicit-def: $vgpr12
                                        ; implicit-def: $vgpr8
                                        ; implicit-def: $vgpr36
                                        ; implicit-def: $vgpr26
                                        ; implicit-def: $vgpr34
                                        ; implicit-def: $vgpr30
                                        ; implicit-def: $vgpr22
	s_and_saveexec_b32 s0, vcc_lo
	s_cbranch_execz .LBB0_5
; %bb.4:
	v_add_nc_u32_e32 v0, 0x400, v93
	v_add_nc_u32_e32 v1, 0x800, v93
	;; [unrolled: 1-line block ×3, first 2 shown]
	ds_read2_b64 v[4:7], v93 offset1:63
	ds_read2_b64 v[20:23], v93 offset0:126 offset1:189
	v_add_nc_u32_e32 v3, 0x1400, v93
	ds_read2_b64 v[28:31], v0 offset0:124 offset1:187
	v_add_nc_u32_e32 v0, 0x1000, v93
	v_add_nc_u32_e32 v8, 0x1800, v93
	ds_read2_b64 v[32:35], v1 offset0:122 offset1:185
	ds_read2_b64 v[24:27], v2 offset0:120 offset1:183
	;; [unrolled: 1-line block ×5, first 2 shown]
	ds_read_b64 v[36:37], v93 offset:8064
.LBB0_5:
	s_or_b32 exec_lo, exec_lo, s0
	s_waitcnt lgkmcnt(0)
	v_sub_f32_e32 v49, v7, v37
	v_add_f32_e32 v66, v36, v6
	v_sub_f32_e32 v48, v6, v36
	v_sub_f32_e32 v51, v21, v11
	v_add_f32_e32 v67, v37, v7
	v_mul_f32_e32 v39, 0xbeb8f4ab, v49
	v_add_f32_e32 v69, v10, v20
	v_sub_f32_e32 v50, v20, v10
	v_mul_f32_e32 v55, 0xbeb8f4ab, v48
	v_mul_f32_e32 v38, 0xbf2c7751, v51
	v_fmamk_f32 v0, v66, 0x3f6eb680, v39
	v_sub_f32_e32 v53, v23, v9
	v_add_f32_e32 v70, v11, v21
	v_mul_f32_e32 v54, 0xbf2c7751, v50
	v_fma_f32 v1, 0x3f6eb680, v67, -v55
	v_fmamk_f32 v2, v69, 0x3f3d2fb0, v38
	v_add_f32_e32 v0, v0, v4
	v_sub_f32_e32 v52, v22, v8
	v_add_f32_e32 v72, v8, v22
	v_mul_f32_e32 v56, 0xbf65296c, v53
	v_sub_f32_e32 v95, v29, v15
	v_fma_f32 v3, 0x3f3d2fb0, v70, -v54
	v_add_f32_e32 v1, v1, v5
	v_add_f32_e32 v0, v2, v0
	;; [unrolled: 1-line block ×3, first 2 shown]
	v_mul_f32_e32 v57, 0xbf65296c, v52
	v_fmamk_f32 v2, v72, 0x3ee437d1, v56
	v_sub_f32_e32 v111, v28, v14
	v_add_f32_e32 v76, v14, v28
	v_mul_f32_e32 v58, 0xbf7ee86f, v95
	v_sub_f32_e32 v122, v31, v13
	v_add_f32_e32 v1, v3, v1
	v_fma_f32 v3, 0x3ee437d1, v73, -v57
	v_add_f32_e32 v79, v15, v29
	v_mul_f32_e32 v59, 0xbf7ee86f, v111
	v_add_f32_e32 v0, v2, v0
	v_fmamk_f32 v2, v76, 0x3dbcf732, v58
	v_add_f32_e32 v98, v12, v30
	v_mul_f32_e32 v60, 0xbf763a35, v122
	v_sub_f32_e32 v123, v30, v12
	v_sub_f32_e32 v125, v33, v19
	v_add_f32_e32 v1, v3, v1
	v_fma_f32 v3, 0x3dbcf732, v79, -v59
	v_add_f32_e32 v0, v2, v0
	v_fmamk_f32 v2, v98, 0xbe8c1d8e, v60
	v_add_f32_e32 v104, v13, v31
	v_mul_f32_e32 v62, 0xbf763a35, v123
	v_add_f32_e32 v99, v18, v32
	v_mul_f32_e32 v61, 0xbf4c4adb, v125
	v_sub_f32_e32 v126, v32, v18
	v_sub_f32_e32 v143, v35, v17
	v_add_f32_e32 v1, v3, v1
	v_add_f32_e32 v0, v2, v0
	v_fma_f32 v2, 0xbe8c1d8e, v104, -v62
	v_fmamk_f32 v3, v99, 0xbf1a4643, v61
	v_add_f32_e32 v112, v19, v33
	v_mul_f32_e32 v64, 0xbf4c4adb, v126
	v_add_f32_e32 v109, v16, v34
	v_mul_f32_e32 v63, 0xbf06c442, v143
	v_sub_f32_e32 v142, v34, v16
	v_add_f32_e32 v1, v2, v1
	v_fma_f32 v2, 0xbf1a4643, v112, -v64
	v_add_f32_e32 v0, v3, v0
	v_fmamk_f32 v3, v109, 0xbf59a7d5, v63
	v_add_f32_e32 v110, v17, v35
	v_mul_f32_e32 v65, 0xbf06c442, v142
	v_sub_f32_e32 v145, v25, v27
	v_mul_f32_e32 v80, 0xbf2c7751, v49
	v_add_f32_e32 v1, v2, v1
	v_add_f32_e32 v0, v3, v0
	v_fma_f32 v2, 0xbf59a7d5, v110, -v65
	v_add_f32_e32 v117, v26, v24
	v_mul_f32_e32 v68, 0xbe3c28d5, v145
	v_fmamk_f32 v3, v66, 0x3f3d2fb0, v80
	v_mul_f32_e32 v81, 0xbf7ee86f, v51
	v_mul_f32_e32 v91, 0xbf2c7751, v48
	v_add_f32_e32 v1, v2, v1
	v_fmamk_f32 v2, v117, 0xbf7ba420, v68
	v_add_f32_e32 v3, v3, v4
	v_fmamk_f32 v40, v69, 0x3dbcf732, v81
	v_fma_f32 v41, 0x3f3d2fb0, v67, -v91
	v_mul_f32_e32 v96, 0xbf7ee86f, v50
	v_mul_f32_e32 v82, 0xbf4c4adb, v53
	v_add_f32_e32 v85, v2, v0
	v_add_f32_e32 v0, v40, v3
	;; [unrolled: 1-line block ×3, first 2 shown]
	v_fma_f32 v3, 0x3dbcf732, v70, -v96
	v_fmamk_f32 v40, v72, 0xbf1a4643, v82
	v_mul_f32_e32 v89, 0xbf4c4adb, v52
	v_mul_f32_e32 v87, 0xbe3c28d5, v95
	v_mul_f32_e32 v90, 0xbe3c28d5, v111
	v_add_f32_e32 v2, v3, v2
	v_add_f32_e32 v0, v40, v0
	v_fma_f32 v3, 0xbf1a4643, v73, -v89
	v_fmamk_f32 v40, v76, 0xbf7ba420, v87
	v_mul_f32_e32 v88, 0x3f06c442, v122
	v_mul_f32_e32 v92, 0x3f06c442, v123
	;; [unrolled: 1-line block ×3, first 2 shown]
	v_add_f32_e32 v2, v3, v2
	v_add_f32_e32 v0, v40, v0
	v_fma_f32 v3, 0xbf7ba420, v79, -v90
	v_fmamk_f32 v40, v98, 0xbf59a7d5, v88
	v_sub_f32_e32 v149, v24, v26
	v_mul_f32_e32 v97, 0x3f763a35, v126
	v_mul_f32_e32 v105, 0xbf65296c, v49
	v_add_f32_e32 v2, v3, v2
	v_fma_f32 v3, 0xbf59a7d5, v104, -v92
	v_add_f32_e32 v0, v40, v0
	v_fmamk_f32 v40, v99, 0xbe8c1d8e, v74
	v_add_f32_e32 v124, v27, v25
	v_mul_f32_e32 v71, 0xbe3c28d5, v149
	v_add_f32_e32 v2, v3, v2
	v_fma_f32 v3, 0xbe8c1d8e, v112, -v97
	v_add_f32_e32 v0, v40, v0
	v_mul_f32_e32 v75, 0x3f65296c, v143
	v_mul_f32_e32 v78, 0x3f65296c, v142
	v_fmamk_f32 v40, v66, 0x3ee437d1, v105
	v_mul_f32_e32 v106, 0xbf4c4adb, v51
	v_fma_f32 v41, 0xbf7ba420, v124, -v71
	v_add_f32_e32 v2, v3, v2
	v_fmamk_f32 v3, v109, 0x3ee437d1, v75
	v_fma_f32 v42, 0x3ee437d1, v110, -v78
	v_add_f32_e32 v40, v40, v4
	v_fmamk_f32 v43, v69, 0xbf1a4643, v106
	v_mul_f32_e32 v107, 0x3e3c28d5, v53
	v_mul_f32_e32 v114, 0xbf65296c, v48
	v_add_f32_e32 v86, v41, v1
	v_add_f32_e32 v0, v3, v0
	;; [unrolled: 1-line block ×4, first 2 shown]
	v_fmamk_f32 v3, v72, 0xbf7ba420, v107
	v_mul_f32_e32 v100, 0x3f763a35, v95
	v_fma_f32 v41, 0x3ee437d1, v67, -v114
	v_mul_f32_e32 v115, 0xbf4c4adb, v50
	v_mul_f32_e32 v101, 0x3f2c7751, v122
	v_add_f32_e32 v2, v3, v2
	v_fmamk_f32 v3, v76, 0xbe8c1d8e, v100
	v_add_f32_e32 v41, v41, v5
	v_fma_f32 v42, 0xbf1a4643, v70, -v115
	v_mul_f32_e32 v116, 0x3e3c28d5, v52
	v_mul_f32_e32 v77, 0x3eb8f4ab, v145
	v_add_f32_e32 v2, v3, v2
	v_fmamk_f32 v3, v98, 0x3f3d2fb0, v101
	v_mul_f32_e32 v102, 0xbeb8f4ab, v125
	v_add_f32_e32 v41, v42, v41
	v_fma_f32 v42, 0xbf7ba420, v73, -v116
	v_mul_f32_e32 v118, 0x3f763a35, v111
	v_mul_f32_e32 v83, 0x3eb8f4ab, v149
	v_fmamk_f32 v40, v117, 0x3f6eb680, v77
	v_add_f32_e32 v2, v3, v2
	v_fmamk_f32 v3, v99, 0x3f6eb680, v102
	v_mul_f32_e32 v103, 0xbf7ee86f, v143
	v_add_f32_e32 v41, v42, v41
	v_fma_f32 v42, 0xbe8c1d8e, v79, -v118
	v_mul_f32_e32 v119, 0x3f2c7751, v123
	v_fma_f32 v43, 0x3f6eb680, v124, -v83
	v_add_f32_e32 v3, v3, v2
	v_fmamk_f32 v44, v109, 0x3dbcf732, v103
	v_add_f32_e32 v2, v40, v0
	v_mul_f32_e32 v108, 0xbf06c442, v145
	v_add_f32_e32 v40, v42, v41
	v_fma_f32 v41, 0x3f3d2fb0, v104, -v119
	v_mul_f32_e32 v113, 0xbeb8f4ab, v126
	v_mul_f32_e32 v129, 0xbf7ee86f, v49
	v_add_f32_e32 v0, v44, v3
	v_fmamk_f32 v42, v117, 0xbf59a7d5, v108
	v_add_f32_e32 v3, v43, v1
	v_add_f32_e32 v1, v41, v40
	v_fma_f32 v40, 0x3f6eb680, v112, -v113
	v_fmamk_f32 v41, v66, 0x3dbcf732, v129
	v_mul_f32_e32 v130, 0xbe3c28d5, v51
	v_mul_f32_e32 v138, 0xbf7ee86f, v48
	v_add_f32_e32 v0, v42, v0
	v_add_f32_e32 v1, v40, v1
	v_mul_f32_e32 v120, 0xbf7ee86f, v142
	v_add_f32_e32 v40, v41, v4
	v_fmamk_f32 v41, v69, 0xbf7ba420, v130
	v_fma_f32 v42, 0x3dbcf732, v67, -v138
	v_mul_f32_e32 v139, 0xbe3c28d5, v50
	v_mul_f32_e32 v127, 0x3f763a35, v53
	v_fma_f32 v43, 0x3dbcf732, v110, -v120
	v_add_f32_e32 v40, v41, v40
	v_add_f32_e32 v41, v42, v5
	v_fma_f32 v42, 0xbf7ba420, v70, -v139
	v_fmamk_f32 v44, v72, 0xbe8c1d8e, v127
	v_mul_f32_e32 v141, 0x3f763a35, v52
	v_mul_f32_e32 v128, 0x3eb8f4ab, v95
	v_add_f32_e32 v1, v43, v1
	v_add_f32_e32 v41, v42, v41
	;; [unrolled: 1-line block ×3, first 2 shown]
	v_fma_f32 v42, 0xbe8c1d8e, v73, -v141
	v_fmamk_f32 v43, v76, 0x3f6eb680, v128
	v_mul_f32_e32 v136, 0x3eb8f4ab, v111
	v_mul_f32_e32 v131, 0xbf65296c, v122
	;; [unrolled: 1-line block ×3, first 2 shown]
	v_add_f32_e32 v41, v42, v41
	v_add_f32_e32 v40, v43, v40
	v_fma_f32 v42, 0x3f6eb680, v79, -v136
	v_fmamk_f32 v43, v98, 0x3ee437d1, v131
	v_mul_f32_e32 v133, 0xbf06c442, v125
	v_mul_f32_e32 v121, 0xbf06c442, v149
	;; [unrolled: 1-line block ×3, first 2 shown]
	v_add_f32_e32 v41, v42, v41
	v_add_f32_e32 v40, v43, v40
	v_fma_f32 v42, 0x3ee437d1, v104, -v134
	v_fmamk_f32 v43, v99, 0xbf59a7d5, v133
	v_mul_f32_e32 v132, 0x3f4c4adb, v143
	v_fma_f32 v44, 0xbf59a7d5, v124, -v121
	v_mul_f32_e32 v137, 0x3f4c4adb, v142
	v_add_f32_e32 v41, v42, v41
	v_fma_f32 v42, 0xbf59a7d5, v112, -v135
	v_add_f32_e32 v40, v43, v40
	v_fmamk_f32 v43, v109, 0xbf1a4643, v132
	v_mul_f32_e32 v146, 0xbf763a35, v49
	v_mul_f32_e32 v156, 0xbf763a35, v48
	v_add_f32_e32 v1, v44, v1
	v_add_f32_e32 v41, v42, v41
	;; [unrolled: 1-line block ×3, first 2 shown]
	v_fma_f32 v42, 0xbf1a4643, v110, -v137
	v_fmamk_f32 v43, v66, 0xbe8c1d8e, v146
	v_mul_f32_e32 v147, 0x3f06c442, v51
	v_fma_f32 v44, 0xbe8c1d8e, v67, -v156
	v_mul_f32_e32 v159, 0x3f06c442, v50
	v_add_f32_e32 v41, v42, v41
	v_add_f32_e32 v42, v43, v4
	v_fmamk_f32 v43, v69, 0xbf59a7d5, v147
	v_add_f32_e32 v44, v44, v5
	v_fma_f32 v45, 0xbf59a7d5, v70, -v159
	v_mul_f32_e32 v148, 0x3f2c7751, v53
	v_mul_f32_e32 v154, 0x3f2c7751, v52
	v_add_f32_e32 v42, v43, v42
	v_mul_f32_e32 v150, 0xbf65296c, v95
	v_add_f32_e32 v43, v45, v44
	v_fmamk_f32 v44, v72, 0x3f3d2fb0, v148
	v_fma_f32 v45, 0x3f3d2fb0, v73, -v154
	v_mul_f32_e32 v155, 0xbf65296c, v111
	v_mul_f32_e32 v152, 0xbe3c28d5, v122
	;; [unrolled: 1-line block ×3, first 2 shown]
	v_add_f32_e32 v42, v44, v42
	v_fmamk_f32 v44, v76, 0x3ee437d1, v150
	v_add_f32_e32 v43, v45, v43
	v_fma_f32 v45, 0x3ee437d1, v79, -v155
	v_mul_f32_e32 v151, 0x3f7ee86f, v125
	v_mul_f32_e32 v140, 0x3f2c7751, v145
	v_add_f32_e32 v42, v44, v42
	v_fmamk_f32 v44, v98, 0xbf7ba420, v152
	v_add_f32_e32 v43, v45, v43
	v_fma_f32 v45, 0xbf7ba420, v104, -v157
	v_mul_f32_e32 v161, 0x3f7ee86f, v126
	v_mul_f32_e32 v153, 0xbeb8f4ab, v143
	v_add_f32_e32 v42, v44, v42
	v_fmamk_f32 v44, v99, 0x3dbcf732, v151
	v_fmamk_f32 v46, v117, 0x3f3d2fb0, v140
	v_mul_f32_e32 v144, 0x3f2c7751, v149
	v_add_f32_e32 v43, v45, v43
	v_fma_f32 v45, 0x3dbcf732, v112, -v161
	v_mul_f32_e32 v160, 0xbeb8f4ab, v142
	v_add_f32_e32 v42, v44, v42
	v_fmamk_f32 v44, v109, 0x3f6eb680, v153
	v_mul_f32_e32 v168, 0xbf4c4adb, v49
	v_add_f32_e32 v40, v46, v40
	v_fma_f32 v46, 0x3f3d2fb0, v124, -v144
	v_add_f32_e32 v43, v45, v43
	v_fma_f32 v45, 0x3f6eb680, v110, -v160
	v_mul_f32_e32 v171, 0xbf4c4adb, v48
	v_add_f32_e32 v42, v44, v42
	v_fmamk_f32 v44, v66, 0xbf1a4643, v168
	v_mul_f32_e32 v169, 0x3f763a35, v51
	v_add_f32_e32 v41, v46, v41
	v_add_f32_e32 v43, v45, v43
	v_fma_f32 v45, 0xbf1a4643, v67, -v171
	v_mul_f32_e32 v172, 0x3f763a35, v50
	v_add_f32_e32 v44, v44, v4
	v_fmamk_f32 v46, v69, 0xbe8c1d8e, v169
	v_mul_f32_e32 v166, 0xbeb8f4ab, v53
	v_add_f32_e32 v45, v45, v5
	v_fma_f32 v47, 0xbe8c1d8e, v70, -v172
	v_mul_f32_e32 v173, 0xbeb8f4ab, v52
	v_add_f32_e32 v44, v46, v44
	v_fmamk_f32 v46, v72, 0x3f6eb680, v166
	v_mul_f32_e32 v163, 0xbf06c442, v95
	;; [unrolled: 6-line block ×4, first 2 shown]
	v_mul_f32_e32 v158, 0xbf4c4adb, v145
	v_add_f32_e32 v45, v47, v45
	v_fma_f32 v47, 0x3dbcf732, v104, -v175
	v_mul_f32_e32 v177, 0xbf2c7751, v126
	v_add_f32_e32 v44, v46, v44
	v_fmamk_f32 v46, v99, 0x3f3d2fb0, v165
	v_mul_f32_e32 v167, 0xbe3c28d5, v143
	v_mul_f32_e32 v179, 0xbf06c442, v49
	;; [unrolled: 1-line block ×3, first 2 shown]
	v_fmamk_f32 v162, v117, 0xbf1a4643, v158
	v_add_f32_e32 v45, v47, v45
	v_fma_f32 v47, 0x3f3d2fb0, v112, -v177
	v_mul_f32_e32 v176, 0xbe3c28d5, v142
	v_add_f32_e32 v44, v46, v44
	v_fmamk_f32 v46, v109, 0xbf7ba420, v167
	v_fma_f32 v181, 0xbf59a7d5, v66, -v179
	v_mul_f32_e32 v182, 0x3f65296c, v51
	v_fmamk_f32 v183, v67, 0xbf59a7d5, v180
	v_mul_f32_e32 v184, 0x3f65296c, v50
	v_add_f32_e32 v42, v162, v42
	v_mul_f32_e32 v162, 0xbf4c4adb, v149
	v_add_f32_e32 v45, v47, v45
	v_fma_f32 v47, 0xbf7ba420, v110, -v176
	v_add_f32_e32 v44, v46, v44
	v_add_f32_e32 v46, v181, v4
	v_fma_f32 v181, 0x3ee437d1, v69, -v182
	v_add_f32_e32 v183, v183, v5
	v_fmamk_f32 v185, v70, 0x3ee437d1, v184
	v_mul_f32_e32 v186, 0xbf7ee86f, v53
	v_fma_f32 v170, 0xbf1a4643, v124, -v162
	v_mul_f32_e32 v187, 0xbf7ee86f, v52
	v_add_f32_e32 v45, v47, v45
	v_add_f32_e32 v46, v181, v46
	;; [unrolled: 1-line block ×3, first 2 shown]
	v_fma_f32 v181, 0x3dbcf732, v72, -v186
	v_mul_f32_e32 v185, 0x3f4c4adb, v95
	v_add_f32_e32 v43, v170, v43
	v_mul_f32_e32 v170, 0x3f65296c, v145
	v_mul_f32_e32 v178, 0x3f65296c, v149
	v_fmamk_f32 v183, v73, 0x3dbcf732, v187
	v_mul_f32_e32 v188, 0x3f4c4adb, v111
	v_add_f32_e32 v46, v181, v46
	v_fma_f32 v181, 0xbf1a4643, v76, -v185
	v_mul_f32_e32 v190, 0xbeb8f4ab, v122
	v_fmamk_f32 v189, v117, 0x3ee437d1, v170
	v_add_f32_e32 v47, v183, v47
	v_fmamk_f32 v183, v79, 0xbf1a4643, v188
	v_fma_f32 v191, 0x3ee437d1, v124, -v178
	v_mul_f32_e32 v192, 0xbeb8f4ab, v123
	v_add_f32_e32 v181, v181, v46
	v_fma_f32 v193, 0x3f6eb680, v98, -v190
	v_mul_f32_e32 v194, 0xbe3c28d5, v125
	v_add_f32_e32 v183, v183, v47
	v_fmamk_f32 v195, v104, 0x3f6eb680, v192
	v_add_f32_e32 v46, v189, v44
	v_add_f32_e32 v47, v191, v45
	v_add_f32_e32 v44, v193, v181
	v_fma_f32 v45, 0xbf7ba420, v99, -v194
	v_add_f32_e32 v181, v195, v183
	v_mul_f32_e32 v183, 0xbe3c28d5, v126
	v_fmac_f32_e32 v179, 0xbf59a7d5, v66
	v_mul_f32_e32 v189, 0x3f2c7751, v143
	v_add_f32_e32 v44, v45, v44
	v_fma_f32 v45, 0xbf59a7d5, v67, -v180
	v_fmamk_f32 v180, v112, 0xbf7ba420, v183
	v_add_f32_e32 v179, v179, v4
	v_fmac_f32_e32 v182, 0x3ee437d1, v69
	v_fma_f32 v184, 0x3ee437d1, v70, -v184
	v_add_f32_e32 v45, v45, v5
	v_fma_f32 v191, 0x3f3d2fb0, v109, -v189
	v_add_f32_e32 v180, v180, v181
	v_mul_f32_e32 v181, 0x3f2c7751, v142
	v_add_f32_e32 v179, v182, v179
	v_add_f32_e32 v45, v184, v45
	v_fmac_f32_e32 v186, 0x3dbcf732, v72
	v_fma_f32 v182, 0x3dbcf732, v73, -v187
	v_add_f32_e32 v44, v191, v44
	v_fmamk_f32 v184, v110, 0x3f3d2fb0, v181
	v_mul_f32_e32 v191, 0xbf763a35, v149
	v_add_f32_e32 v179, v186, v179
	v_add_f32_e32 v45, v182, v45
	v_fmac_f32_e32 v185, 0xbf1a4643, v76
	v_fma_f32 v182, 0xbf1a4643, v79, -v188
	v_mul_f32_e32 v187, 0xbf763a35, v145
	v_add_f32_e32 v180, v184, v180
	v_fmamk_f32 v186, v124, 0xbe8c1d8e, v191
	v_add_f32_e32 v179, v185, v179
	v_add_f32_e32 v182, v182, v45
	v_fma_f32 v185, 0x3f6eb680, v104, -v192
	v_mul_f32_e32 v49, 0xbe3c28d5, v49
	v_fma_f32 v184, 0xbe8c1d8e, v117, -v187
	v_add_f32_e32 v45, v186, v180
	v_mul_f32_e32 v51, 0x3eb8f4ab, v51
	v_add_f32_e32 v180, v185, v182
	v_fma_f32 v182, 0xbf7ba420, v112, -v183
	v_fma_f32 v183, 0xbf7ba420, v66, -v49
	v_mul_f32_e32 v48, 0xbe3c28d5, v48
	v_add_f32_e32 v44, v184, v44
	v_mul_f32_e32 v50, 0x3eb8f4ab, v50
	v_add_f32_e32 v180, v182, v180
	v_add_f32_e32 v182, v183, v4
	v_fma_f32 v183, 0x3f6eb680, v69, -v51
	v_fmamk_f32 v184, v67, 0xbf7ba420, v48
	v_mul_f32_e32 v52, 0xbf06c442, v52
	v_fmac_f32_e32 v49, 0xbf7ba420, v66
	v_fma_f32 v48, 0xbf7ba420, v67, -v48
	v_add_f32_e32 v182, v183, v182
	v_add_f32_e32 v183, v184, v5
	v_fmamk_f32 v184, v70, 0x3f6eb680, v50
	v_mul_f32_e32 v53, 0xbf06c442, v53
	v_fma_f32 v181, 0x3f3d2fb0, v110, -v181
	v_mul_f32_e32 v111, 0x3f2c7751, v111
	v_add_f32_e32 v49, v49, v4
	v_add_f32_e32 v183, v184, v183
	v_fmamk_f32 v184, v73, 0xbf59a7d5, v52
	v_fmac_f32_e32 v51, 0x3f6eb680, v69
	v_add_f32_e32 v48, v48, v5
	v_fma_f32 v50, 0x3f6eb680, v70, -v50
	v_fmac_f32_e32 v190, 0x3f6eb680, v98
	v_fma_f32 v185, 0xbf59a7d5, v72, -v53
	v_mul_f32_e32 v95, 0x3f2c7751, v95
	v_add_f32_e32 v180, v181, v180
	v_add_f32_e32 v181, v184, v183
	v_fmamk_f32 v183, v79, 0x3f3d2fb0, v111
	v_mul_f32_e32 v123, 0xbf4c4adb, v123
	v_add_f32_e32 v49, v51, v49
	v_add_f32_e32 v50, v50, v48
	v_fmac_f32_e32 v53, 0xbf59a7d5, v72
	v_fma_f32 v52, 0xbf59a7d5, v73, -v52
	v_add_f32_e32 v179, v190, v179
	v_fmac_f32_e32 v194, 0xbf7ba420, v99
	v_add_f32_e32 v182, v185, v182
	v_fma_f32 v185, 0x3f3d2fb0, v76, -v95
	v_mul_f32_e32 v122, 0xbf4c4adb, v122
	v_add_f32_e32 v181, v183, v181
	v_fmamk_f32 v184, v104, 0xbf1a4643, v123
	v_add_f32_e32 v49, v53, v49
	v_mul_f32_e32 v126, 0x3f65296c, v126
	v_add_f32_e32 v50, v52, v50
	v_fmac_f32_e32 v95, 0x3f3d2fb0, v76
	v_fma_f32 v52, 0x3f3d2fb0, v79, -v111
	v_add_f32_e32 v179, v194, v179
	v_fmac_f32_e32 v189, 0x3f3d2fb0, v109
	v_add_f32_e32 v182, v185, v182
	v_fma_f32 v183, 0xbf1a4643, v98, -v122
	v_add_f32_e32 v181, v184, v181
	v_mul_f32_e32 v51, 0x3f65296c, v125
	v_fmamk_f32 v111, v112, 0x3ee437d1, v126
	v_add_f32_e32 v49, v95, v49
	v_add_f32_e32 v50, v52, v50
	v_fmac_f32_e32 v122, 0xbf1a4643, v98
	v_fma_f32 v52, 0xbf1a4643, v104, -v123
	v_add_f32_e32 v179, v189, v179
	v_add_f32_e32 v182, v183, v182
	v_fmac_f32_e32 v187, 0xbe8c1d8e, v117
	v_fma_f32 v53, 0x3ee437d1, v99, -v51
	v_mul_f32_e32 v143, 0xbf763a35, v143
	v_add_f32_e32 v95, v111, v181
	v_mul_f32_e32 v111, 0xbf763a35, v142
	v_add_f32_e32 v49, v122, v49
	v_add_f32_e32 v50, v52, v50
	v_fmac_f32_e32 v51, 0x3ee437d1, v99
	v_fma_f32 v52, 0x3ee437d1, v112, -v126
	s_clause 0x1
	s_load_dwordx2 s[6:7], s[4:5], 0x20
	s_load_dwordx2 s[2:3], s[4:5], 0x8
	v_add_f32_e32 v48, v187, v179
	v_add_f32_e32 v53, v53, v182
	v_fma_f32 v179, 0xbe8c1d8e, v109, -v143
	v_fmamk_f32 v122, v110, 0xbe8c1d8e, v111
	v_mul_f32_e32 v123, 0x3f7ee86f, v145
	v_mul_f32_e32 v126, 0x3f7ee86f, v149
	v_add_f32_e32 v49, v51, v49
	v_add_f32_e32 v50, v52, v50
	v_fmac_f32_e32 v143, 0xbe8c1d8e, v109
	v_fma_f32 v51, 0xbe8c1d8e, v110, -v111
	v_fma_f32 v125, 0xbe8c1d8e, v124, -v191
	v_add_f32_e32 v53, v179, v53
	v_add_f32_e32 v95, v122, v95
	v_fma_f32 v52, 0x3dbcf732, v117, -v123
	v_fmamk_f32 v111, v124, 0x3dbcf732, v126
	v_add_f32_e32 v122, v143, v49
	v_add_f32_e32 v51, v51, v50
	v_fmac_f32_e32 v123, 0x3dbcf732, v117
	v_fma_f32 v126, 0x3dbcf732, v124, -v126
	v_add_f32_e32 v49, v125, v180
	v_add_f32_e32 v52, v52, v53
	;; [unrolled: 1-line block ×5, first 2 shown]
	v_mul_lo_u16 v95, v94, 17
	s_waitcnt lgkmcnt(0)
	s_barrier
	buffer_gl0_inv
	s_and_saveexec_b32 s0, vcc_lo
	s_cbranch_execz .LBB0_7
; %bb.6:
	v_mul_f32_e32 v122, 0x3f6eb680, v67
	v_mul_f32_e32 v125, 0x3f3d2fb0, v67
	;; [unrolled: 1-line block ×12, first 2 shown]
	v_add_f32_e32 v67, v171, v67
	v_mul_f32_e32 v191, 0x3ee437d1, v73
	v_mul_f32_e32 v193, 0xbf1a4643, v73
	v_mul_f32_e32 v195, 0xbf7ba420, v73
	v_mul_f32_e32 v197, 0xbe8c1d8e, v73
	v_mul_f32_e32 v199, 0x3f3d2fb0, v73
	v_mul_f32_e32 v73, 0x3f6eb680, v73
	v_add_f32_e32 v67, v67, v5
	v_add_f32_e32 v70, v172, v70
	v_mul_f32_e32 v201, 0x3dbcf732, v79
	v_mul_f32_e32 v203, 0xbf7ba420, v79
	v_mul_f32_e32 v205, 0xbe8c1d8e, v79
	v_mul_f32_e32 v207, 0x3f6eb680, v79
	v_mul_f32_e32 v209, 0x3ee437d1, v79
	v_mul_f32_e32 v79, 0xbf59a7d5, v79
	v_add_f32_e32 v67, v70, v67
	;; [unrolled: 8-line block ×3, first 2 shown]
	v_add_f32_e32 v70, v174, v79
	v_mul_f32_e32 v111, 0x3f6eb680, v66
	v_mul_f32_e32 v123, 0x3f3d2fb0, v66
	;; [unrolled: 1-line block ×12, first 2 shown]
	v_add_f32_e32 v67, v70, v67
	v_add_f32_e32 v70, v175, v104
	v_mul_f32_e32 v180, 0x3f3d2fb0, v69
	v_mul_f32_e32 v182, 0x3dbcf732, v69
	;; [unrolled: 1-line block ×12, first 2 shown]
	v_add_f32_e32 v67, v70, v67
	v_add_f32_e32 v70, v177, v112
	v_sub_f32_e32 v66, v66, v168
	v_mul_f32_e32 v190, 0x3ee437d1, v72
	v_mul_f32_e32 v192, 0xbf1a4643, v72
	;; [unrolled: 1-line block ×12, first 2 shown]
	v_add_f32_e32 v67, v70, v67
	v_add_f32_e32 v70, v176, v110
	;; [unrolled: 1-line block ×3, first 2 shown]
	v_sub_f32_e32 v69, v69, v169
	v_mul_f32_e32 v200, 0x3dbcf732, v76
	v_mul_f32_e32 v202, 0xbf7ba420, v76
	;; [unrolled: 1-line block ×12, first 2 shown]
	v_add_f32_e32 v117, v156, v179
	v_add_f32_e32 v67, v70, v67
	;; [unrolled: 1-line block ×4, first 2 shown]
	v_sub_f32_e32 v72, v72, v166
	v_mul_f32_e32 v210, 0xbe8c1d8e, v98
	v_mul_f32_e32 v212, 0xbf59a7d5, v98
	v_mul_f32_e32 v214, 0x3f3d2fb0, v98
	v_mul_f32_e32 v216, 0x3ee437d1, v98
	v_mul_f32_e32 v218, 0xbf7ba420, v98
	v_mul_f32_e32 v98, 0x3dbcf732, v98
	v_add_f32_e32 v117, v117, v5
	v_add_f32_e32 v124, v159, v189
	v_add_f32_e32 v66, v70, v67
	v_sub_f32_e32 v67, v149, v146
	v_add_f32_e32 v69, v72, v69
	v_sub_f32_e32 v70, v76, v163
	v_mul_f32_e32 v220, 0xbf1a4643, v99
	v_mul_f32_e32 v222, 0xbe8c1d8e, v99
	v_mul_f32_e32 v224, 0x3f6eb680, v99
	v_mul_f32_e32 v226, 0xbf59a7d5, v99
	v_mul_f32_e32 v228, 0x3dbcf732, v99
	v_mul_f32_e32 v99, 0x3f3d2fb0, v99
	v_add_f32_e32 v72, v124, v117
	v_add_f32_e32 v76, v154, v199
	v_add_f32_e32 v67, v67, v4
	v_sub_f32_e32 v117, v188, v147
	v_add_f32_e32 v69, v70, v69
	;; [unrolled: 12-line block ×3, first 2 shown]
	v_sub_f32_e32 v70, v99, v165
	v_add_f32_e32 v72, v76, v72
	v_add_f32_e32 v76, v157, v219
	;; [unrolled: 1-line block ×3, first 2 shown]
	v_sub_f32_e32 v98, v208, v150
	v_add_f32_e32 v69, v70, v69
	v_sub_f32_e32 v70, v109, v167
	v_add_f32_e32 v72, v76, v72
	v_add_f32_e32 v76, v161, v229
	v_add_f32_e32 v67, v98, v67
	v_sub_f32_e32 v98, v218, v152
	v_add_f32_e32 v99, v70, v69
	v_add_f32_e32 v69, v138, v145
	v_add_f32_e32 v70, v76, v72
	v_add_f32_e32 v72, v160, v173
	v_add_f32_e32 v67, v98, v67
	v_sub_f32_e32 v76, v228, v151
	v_add_f32_e32 v69, v69, v5
	v_add_f32_e32 v98, v139, v187
	;; [unrolled: 6-line block ×3, first 2 shown]
	v_sub_f32_e32 v109, v143, v129
	v_sub_f32_e32 v98, v110, v170
	v_add_f32_e32 v70, v72, v70
	v_add_f32_e32 v67, v73, v67
	;; [unrolled: 1-line block ×5, first 2 shown]
	v_sub_f32_e32 v76, v186, v130
	v_add_f32_e32 v110, v114, v142
	v_sub_f32_e32 v109, v112, v158
	v_add_f32_e32 v69, v72, v69
	v_add_f32_e32 v72, v134, v217
	v_add_f32_e32 v73, v76, v73
	v_sub_f32_e32 v76, v196, v127
	v_add_f32_e32 v110, v110, v5
	v_add_f32_e32 v112, v115, v185
	v_add_f32_e32 v69, v72, v69
	v_add_f32_e32 v72, v135, v227
	v_add_f32_e32 v73, v76, v73
	v_sub_f32_e32 v76, v206, v128
	v_add_f32_e32 v110, v112, v110
	v_add_f32_e32 v112, v116, v195
	;; [unrolled: 6-line block ×4, first 2 shown]
	v_add_f32_e32 v110, v144, v239
	v_sub_f32_e32 v112, v234, v132
	v_add_f32_e32 v73, v73, v72
	v_add_f32_e32 v91, v91, v125
	;; [unrolled: 1-line block ×11, first 2 shown]
	v_sub_f32_e32 v81, v182, v81
	v_add_f32_e32 v91, v96, v91
	v_add_f32_e32 v90, v90, v203
	;; [unrolled: 1-line block ×9, first 2 shown]
	v_sub_f32_e32 v73, v123, v80
	v_add_f32_e32 v89, v90, v89
	v_add_f32_e32 v90, v92, v213
	;; [unrolled: 1-line block ×5, first 2 shown]
	v_sub_f32_e32 v20, v222, v74
	v_add_f32_e32 v74, v83, v237
	v_add_f32_e32 v7, v23, v7
	;; [unrolled: 1-line block ×4, first 2 shown]
	v_sub_f32_e32 v81, v192, v82
	v_sub_f32_e32 v22, v231, v75
	v_add_f32_e32 v7, v29, v7
	v_add_f32_e32 v23, v28, v6
	v_sub_f32_e32 v105, v126, v105
	v_add_f32_e32 v73, v81, v73
	v_sub_f32_e32 v81, v202, v87
	v_add_f32_e32 v87, v90, v89
	v_add_f32_e32 v89, v97, v223
	;; [unrolled: 1-line block ×3, first 2 shown]
	v_sub_f32_e32 v28, v111, v39
	v_add_f32_e32 v73, v81, v73
	v_sub_f32_e32 v81, v212, v88
	v_add_f32_e32 v87, v89, v87
	v_add_f32_e32 v7, v33, v7
	;; [unrolled: 1-line block ×7, first 2 shown]
	v_sub_f32_e32 v28, v180, v38
	v_sub_f32_e32 v106, v184, v106
	v_add_f32_e32 v20, v20, v73
	v_add_f32_e32 v6, v74, v21
	;; [unrolled: 1-line block ×10, first 2 shown]
	v_sub_f32_e32 v106, v194, v107
	v_add_f32_e32 v21, v32, v22
	v_add_f32_e32 v22, v54, v181
	;; [unrolled: 1-line block ×3, first 2 shown]
	v_sub_f32_e32 v100, v204, v100
	v_add_f32_e32 v105, v106, v105
	v_add_f32_e32 v21, v34, v21
	;; [unrolled: 1-line block ×7, first 2 shown]
	v_sub_f32_e32 v24, v190, v56
	v_add_f32_e32 v5, v22, v5
	v_add_f32_e32 v22, v59, v201
	v_add_f32_e32 v7, v13, v7
	v_add_f32_e32 v21, v26, v21
	v_add_f32_e32 v4, v24, v4
	v_sub_f32_e32 v24, v200, v58
	v_add_f32_e32 v5, v22, v5
	v_add_f32_e32 v80, v100, v105
	;; [unrolled: 1-line block ×3, first 2 shown]
	v_sub_f32_e32 v21, v210, v60
	v_add_f32_e32 v4, v24, v4
	v_sub_f32_e32 v100, v214, v101
	v_add_f32_e32 v5, v17, v5
	v_add_f32_e32 v16, v18, v16
	;; [unrolled: 1-line block ×4, first 2 shown]
	v_sub_f32_e32 v13, v220, v61
	v_add_f32_e32 v7, v15, v7
	v_add_f32_e32 v12, v12, v16
	v_add_f32_e32 v80, v100, v80
	v_sub_f32_e32 v96, v224, v102
	v_add_f32_e32 v5, v17, v5
	v_add_f32_e32 v16, v65, v230
	;; [unrolled: 1-line block ×4, first 2 shown]
	v_sub_f32_e32 v13, v171, v63
	v_add_f32_e32 v7, v9, v7
	v_add_f32_e32 v80, v96, v80
	;; [unrolled: 1-line block ×3, first 2 shown]
	v_sub_f32_e32 v82, v172, v103
	v_add_f32_e32 v5, v16, v5
	v_add_f32_e32 v9, v71, v174
	;; [unrolled: 1-line block ×3, first 2 shown]
	v_sub_f32_e32 v12, v79, v68
	v_add_f32_e32 v11, v11, v7
	v_add_f32_e32 v13, v10, v8
	v_mov_b32_e32 v14, 3
	v_add_f32_e32 v80, v82, v80
	v_sub_f32_e32 v82, v104, v108
	v_sub_f32_e32 v23, v236, v77
	;; [unrolled: 1-line block ×3, first 2 shown]
	v_add_f32_e32 v8, v9, v5
	v_add_f32_e32 v7, v12, v4
	;; [unrolled: 1-line block ×4, first 2 shown]
	v_lshlrev_b32_sdwa v4, v14, v95 dst_sel:DWORD dst_unused:UNUSED_PAD src0_sel:DWORD src1_sel:WORD_0
	v_add_f32_e32 v75, v82, v80
	v_add_f32_e32 v5, v23, v20
	;; [unrolled: 1-line block ×4, first 2 shown]
	ds_write2_b64 v4, v[9:10], v[7:8] offset1:1
	ds_write2_b64 v4, v[5:6], v[75:76] offset0:2 offset1:3
	ds_write2_b64 v4, v[71:72], v[69:70] offset0:4 offset1:5
	;; [unrolled: 1-line block ×7, first 2 shown]
	ds_write_b64 v4, v[85:86] offset:128
.LBB0_7:
	s_or_b32 exec_lo, exec_lo, s0
	v_add_nc_u32_e32 v4, 0x800, v93
	v_add_nc_u32_e32 v5, 0x1000, v93
	s_waitcnt lgkmcnt(0)
	s_barrier
	buffer_gl0_inv
	ds_read2_b64 v[28:31], v93 offset1:153
	ds_read2_b64 v[36:39], v4 offset0:50 offset1:203
	ds_read2_b64 v[32:35], v5 offset0:100 offset1:253
	ds_read_b64 v[54:55], v93 offset:7344
	v_cmp_gt_u16_e64 s0, 34, v94
	s_and_saveexec_b32 s1, s0
	s_cbranch_execz .LBB0_9
; %bb.8:
	v_add_nc_u32_e32 v4, 0xc00, v93
	v_add_nc_u32_e32 v8, 0x1400, v93
	;; [unrolled: 1-line block ×3, first 2 shown]
	ds_read2_b64 v[4:7], v4 offset0:41 offset1:194
	ds_read2_b64 v[8:11], v8 offset0:91 offset1:244
	;; [unrolled: 1-line block ×3, first 2 shown]
	ds_read_b64 v[40:41], v93 offset:8296
	s_waitcnt lgkmcnt(3)
	v_mov_b32_e32 v48, v6
	v_mov_b32_e32 v49, v7
	s_waitcnt lgkmcnt(2)
	v_mov_b32_e32 v42, v10
	v_mov_b32_e32 v43, v11
	;; [unrolled: 1-line block ×6, first 2 shown]
	s_waitcnt lgkmcnt(1)
	v_mov_b32_e32 v52, v14
	v_mov_b32_e32 v53, v15
	;; [unrolled: 1-line block ×4, first 2 shown]
.LBB0_9:
	s_or_b32 exec_lo, exec_lo, s1
	v_and_b32_e32 v4, 0xff, v94
	v_add_nc_u16 v5, v94, 0x77
	v_mov_b32_e32 v56, 0x77
	v_mul_lo_u16 v4, 0xf1, v4
	v_and_b32_e32 v6, 0xff, v5
	v_lshrrev_b16 v57, 12, v4
	v_mul_lo_u16 v4, v57, 17
	v_mul_u32_u24_sdwa v57, v57, v56 dst_sel:DWORD dst_unused:UNUSED_PAD src0_sel:WORD_0 src1_sel:DWORD
	v_sub_nc_u16 v4, v94, v4
	v_and_b32_e32 v58, 0xff, v4
	v_mul_lo_u16 v4, 0xf1, v6
	v_mul_u32_u24_e32 v6, 6, v58
	v_lshrrev_b16 v96, 12, v4
	v_add_lshl_u32 v98, v57, v58, 3
	v_lshlrev_b32_e32 v4, 3, v6
	v_mul_lo_u16 v6, v96, 17
	s_clause 0x1
	global_load_dwordx4 v[24:27], v4, s[2:3]
	global_load_dwordx4 v[20:23], v4, s[2:3] offset:16
	v_sub_nc_u16 v5, v5, v6
	global_load_dwordx4 v[16:19], v4, s[2:3] offset:32
	v_and_b32_e32 v97, 0xff, v5
	v_mul_u32_u24_e32 v4, 6, v97
	v_lshlrev_b32_e32 v12, 3, v4
	s_clause 0x2
	global_load_dwordx4 v[8:11], v12, s[2:3]
	global_load_dwordx4 v[4:7], v12, s[2:3] offset:16
	global_load_dwordx4 v[12:15], v12, s[2:3] offset:32
	s_load_dwordx4 s[4:7], s[6:7], 0x0
	s_waitcnt vmcnt(0) lgkmcnt(0)
	s_barrier
	buffer_gl0_inv
	v_mul_f32_e32 v57, v31, v25
	v_mul_f32_e32 v58, v30, v25
	;; [unrolled: 1-line block ×12, first 2 shown]
	v_fma_f32 v30, v30, v24, -v57
	v_fmac_f32_e32 v58, v31, v24
	v_fma_f32 v31, v36, v26, -v59
	v_fmac_f32_e32 v60, v37, v26
	;; [unrolled: 2-line block ×6, first 2 shown]
	v_mul_f32_e32 v35, v53, v9
	v_mul_f32_e32 v37, v52, v9
	;; [unrolled: 1-line block ×12, first 2 shown]
	v_fma_f32 v35, v52, v8, -v35
	v_fmac_f32_e32 v37, v53, v8
	v_fma_f32 v38, v50, v10, -v38
	v_fmac_f32_e32 v39, v51, v10
	v_fmac_f32_e32 v55, v49, v4
	;; [unrolled: 1-line block ×3, first 2 shown]
	v_fma_f32 v42, v42, v12, -v61
	v_fmac_f32_e32 v63, v43, v12
	v_fma_f32 v40, v40, v14, -v65
	v_fmac_f32_e32 v67, v41, v14
	v_add_f32_e32 v41, v30, v34
	v_add_f32_e32 v43, v58, v68
	v_sub_f32_e32 v30, v30, v34
	v_sub_f32_e32 v34, v58, v68
	v_add_f32_e32 v47, v31, v33
	v_add_f32_e32 v49, v60, v66
	v_sub_f32_e32 v31, v31, v33
	v_sub_f32_e32 v33, v60, v66
	;; [unrolled: 4-line block ×3, first 2 shown]
	v_fma_f32 v48, v48, v4, -v54
	v_fma_f32 v46, v46, v6, -v57
	v_add_f32_e32 v52, v47, v41
	v_add_f32_e32 v53, v49, v43
	v_sub_f32_e32 v57, v49, v43
	v_sub_f32_e32 v43, v43, v51
	;; [unrolled: 1-line block ×3, first 2 shown]
	v_add_f32_e32 v58, v32, v31
	v_add_f32_e32 v60, v36, v33
	v_sub_f32_e32 v61, v32, v31
	v_sub_f32_e32 v62, v36, v33
	;; [unrolled: 1-line block ×3, first 2 shown]
	v_add_f32_e32 v64, v35, v40
	v_add_f32_e32 v65, v37, v67
	v_sub_f32_e32 v40, v35, v40
	v_add_f32_e32 v35, v38, v42
	v_add_f32_e32 v66, v39, v63
	v_sub_f32_e32 v54, v47, v41
	v_sub_f32_e32 v41, v41, v50
	;; [unrolled: 1-line block ×9, first 2 shown]
	v_add_f32_e32 v42, v48, v46
	v_add_f32_e32 v63, v55, v59
	v_sub_f32_e32 v46, v46, v48
	v_sub_f32_e32 v48, v59, v55
	v_add_f32_e32 v50, v50, v52
	v_add_f32_e32 v51, v51, v53
	;; [unrolled: 1-line block ×3, first 2 shown]
	v_mul_f32_e32 v43, 0x3f4a47b2, v43
	v_mul_f32_e32 v55, 0x3d64c772, v49
	;; [unrolled: 1-line block ×5, first 2 shown]
	v_add_f32_e32 v62, v35, v64
	v_add_f32_e32 v67, v66, v65
	v_add_f32_e32 v52, v60, v34
	v_mul_f32_e32 v41, 0x3f4a47b2, v41
	v_mul_f32_e32 v53, 0x3d64c772, v47
	;; [unrolled: 1-line block ×3, first 2 shown]
	v_sub_f32_e32 v68, v35, v64
	v_sub_f32_e32 v69, v66, v65
	;; [unrolled: 1-line block ×6, first 2 shown]
	v_add_f32_e32 v71, v46, v38
	v_add_f32_e32 v72, v48, v39
	v_sub_f32_e32 v73, v46, v38
	v_sub_f32_e32 v74, v48, v39
	;; [unrolled: 1-line block ×4, first 2 shown]
	v_add_f32_e32 v34, v28, v50
	v_add_f32_e32 v35, v29, v51
	v_fmamk_f32 v49, v49, 0x3d64c772, v43
	v_fma_f32 v55, 0x3f3bfb3b, v57, -v55
	v_fma_f32 v43, 0xbf3bfb3b, v57, -v43
	v_fmamk_f32 v57, v36, 0x3eae86e6, v59
	v_fma_f32 v33, 0x3f5ff5aa, v33, -v59
	v_fma_f32 v59, 0xbeae86e6, v36, -v61
	v_add_f32_e32 v36, v42, v62
	v_add_f32_e32 v42, v63, v67
	v_sub_f32_e32 v46, v40, v46
	v_sub_f32_e32 v48, v37, v48
	v_fmamk_f32 v47, v47, 0x3d64c772, v41
	v_fma_f32 v53, 0x3f3bfb3b, v54, -v53
	v_fma_f32 v41, 0xbf3bfb3b, v54, -v41
	v_fmamk_f32 v54, v32, 0x3eae86e6, v58
	v_fma_f32 v58, 0x3f5ff5aa, v31, -v58
	v_fma_f32 v32, 0xbeae86e6, v32, -v60
	v_mul_f32_e32 v31, 0x3f4a47b2, v64
	v_mul_f32_e32 v60, 0x3f4a47b2, v65
	;; [unrolled: 1-line block ×8, first 2 shown]
	v_fmamk_f32 v50, v50, 0xbf955555, v34
	v_fmamk_f32 v51, v51, 0xbf955555, v35
	v_add_f32_e32 v28, v44, v36
	v_add_f32_e32 v29, v45, v42
	;; [unrolled: 1-line block ×4, first 2 shown]
	v_fmac_f32_e32 v54, 0x3ee1c552, v30
	v_fmac_f32_e32 v57, 0x3ee1c552, v52
	;; [unrolled: 1-line block ×6, first 2 shown]
	v_fmamk_f32 v44, v70, 0x3d64c772, v31
	v_fmamk_f32 v45, v66, 0x3d64c772, v60
	v_fma_f32 v61, 0x3f3bfb3b, v68, -v61
	v_fma_f32 v62, 0x3f3bfb3b, v69, -v62
	;; [unrolled: 1-line block ×4, first 2 shown]
	v_fmamk_f32 v30, v46, 0x3eae86e6, v63
	v_fmamk_f32 v31, v48, 0x3eae86e6, v64
	v_fma_f32 v63, 0x3f5ff5aa, v38, -v63
	v_fma_f32 v64, 0x3f5ff5aa, v39, -v64
	;; [unrolled: 1-line block ×4, first 2 shown]
	v_add_f32_e32 v47, v47, v50
	v_add_f32_e32 v48, v49, v51
	;; [unrolled: 1-line block ×6, first 2 shown]
	v_fmamk_f32 v55, v36, 0xbf955555, v28
	v_fmamk_f32 v67, v42, 0xbf955555, v29
	v_fmac_f32_e32 v30, 0x3ee1c552, v40
	v_fmac_f32_e32 v31, 0x3ee1c552, v37
	;; [unrolled: 1-line block ×6, first 2 shown]
	v_add_f32_e32 v36, v57, v47
	v_add_f32_e32 v38, v59, v50
	v_sub_f32_e32 v39, v51, v32
	v_sub_f32_e32 v40, v49, v33
	v_add_f32_e32 v41, v58, v52
	v_add_f32_e32 v42, v33, v49
	v_sub_f32_e32 v43, v52, v58
	v_sub_f32_e32 v52, v50, v59
	v_add_f32_e32 v53, v32, v51
	v_sub_f32_e32 v57, v47, v57
	v_add_f32_e32 v32, v44, v55
	v_add_f32_e32 v44, v66, v55
	;; [unrolled: 1-line block ×6, first 2 shown]
	v_sub_f32_e32 v37, v48, v54
	v_add_f32_e32 v58, v54, v48
	v_add_f32_e32 v54, v65, v44
	v_sub_f32_e32 v55, v47, v46
	v_sub_f32_e32 v48, v50, v64
	v_add_f32_e32 v49, v63, v51
	v_add_f32_e32 v50, v64, v50
	v_sub_f32_e32 v51, v51, v63
	v_sub_f32_e32 v44, v44, v65
	v_add_f32_e32 v45, v46, v47
	v_sub_f32_e32 v46, v32, v31
	v_add_f32_e32 v47, v30, v33
	ds_write2_b64 v98, v[34:35], v[36:37] offset1:17
	ds_write2_b64 v98, v[38:39], v[40:41] offset0:34 offset1:51
	ds_write2_b64 v98, v[42:43], v[52:53] offset0:68 offset1:85
	ds_write_b64 v98, v[57:58] offset:816
	s_and_saveexec_b32 s1, s0
	s_cbranch_execz .LBB0_11
; %bb.10:
	v_mul_u32_u24_sdwa v34, v96, v56 dst_sel:DWORD dst_unused:UNUSED_PAD src0_sel:WORD_0 src1_sel:DWORD
	v_sub_f32_e32 v33, v33, v30
	v_add_f32_e32 v32, v31, v32
	v_add_lshl_u32 v30, v34, v97, 3
	ds_write2_b64 v30, v[28:29], v[32:33] offset1:17
	ds_write2_b64 v30, v[54:55], v[48:49] offset0:34 offset1:51
	ds_write2_b64 v30, v[50:51], v[44:45] offset0:68 offset1:85
	ds_write_b64 v30, v[46:47] offset:816
.LBB0_11:
	s_or_b32 exec_lo, exec_lo, s1
	v_lshlrev_b32_e32 v28, 6, v94
	s_waitcnt lgkmcnt(0)
	s_barrier
	buffer_gl0_inv
	v_add_nc_u32_e32 v73, 0x800, v93
	s_clause 0x3
	global_load_dwordx4 v[40:43], v28, s[2:3] offset:816
	global_load_dwordx4 v[36:39], v28, s[2:3] offset:832
	;; [unrolled: 1-line block ×4, first 2 shown]
	v_add_nc_u32_e32 v74, 0x1000, v93
	v_add_nc_u32_e32 v72, 0x1800, v93
	ds_read2_b64 v[56:59], v93 offset0:119 offset1:238
	ds_read2_b64 v[60:63], v73 offset0:101 offset1:220
	;; [unrolled: 1-line block ×4, first 2 shown]
	ds_read_b64 v[75:76], v93
	v_add_nc_u32_e32 v77, 0x400, v93
	v_add_nc_u32_e32 v79, 0x1400, v93
	;; [unrolled: 1-line block ×3, first 2 shown]
	s_waitcnt vmcnt(3) lgkmcnt(4)
	v_mul_f32_e32 v52, v57, v41
	v_mul_f32_e32 v53, v56, v41
	v_mul_f32_e32 v80, v59, v43
	v_mul_f32_e32 v81, v58, v43
	s_waitcnt vmcnt(2) lgkmcnt(3)
	v_mul_f32_e32 v83, v60, v37
	v_mul_f32_e32 v87, v63, v39
	s_waitcnt vmcnt(1) lgkmcnt(2)
	v_mul_f32_e32 v89, v65, v33
	s_waitcnt vmcnt(0) lgkmcnt(1)
	v_mul_f32_e32 v100, v68, v29
	v_mul_f32_e32 v101, v71, v31
	;; [unrolled: 1-line block ×8, first 2 shown]
	v_fma_f32 v52, v56, v40, -v52
	v_fmac_f32_e32 v53, v57, v40
	v_fma_f32 v56, v58, v42, -v80
	v_fmac_f32_e32 v81, v59, v42
	v_fmac_f32_e32 v83, v61, v36
	v_fma_f32 v58, v62, v38, -v87
	v_fma_f32 v59, v64, v32, -v89
	;; [unrolled: 1-line block ×3, first 2 shown]
	v_fmac_f32_e32 v102, v71, v30
	v_fmac_f32_e32 v100, v69, v28
	v_mul_f32_e32 v91, v67, v35
	v_fmac_f32_e32 v88, v63, v38
	v_fmac_f32_e32 v90, v65, v32
	v_fma_f32 v62, v68, v28, -v99
	v_fmac_f32_e32 v92, v67, v34
	v_add_f32_e32 v64, v52, v61
	v_add_f32_e32 v65, v53, v102
	;; [unrolled: 1-line block ×3, first 2 shown]
	v_sub_f32_e32 v52, v52, v61
	v_sub_f32_e32 v70, v58, v59
	v_fma_f32 v57, v60, v36, -v82
	v_fma_f32 v60, v66, v34, -v91
	v_add_f32_e32 v66, v56, v62
	v_add_f32_e32 v69, v83, v92
	v_sub_f32_e32 v56, v56, v62
	v_sub_f32_e32 v61, v81, v100
	v_add_f32_e32 v81, v88, v90
	v_mul_f32_e32 v82, 0x3f248dbb, v52
	v_mul_f32_e32 v91, 0xbf248dbb, v70
	v_add_f32_e32 v104, v67, v65
	v_mul_f32_e32 v105, 0x3f7c1c5c, v70
	v_add_f32_e32 v68, v57, v60
	v_sub_f32_e32 v57, v57, v60
	v_fmac_f32_e32 v82, 0x3f7c1c5c, v56
	v_fmac_f32_e32 v91, 0x3f7c1c5c, v52
	v_add_f32_e32 v109, v81, v104
	v_fma_f32 v105, 0xbf248dbb, v56, -v105
	v_add_f32_e32 v104, v69, v104
	v_fmac_f32_e32 v82, 0x3f5db3d7, v57
	v_fmac_f32_e32 v91, 0xbf5db3d7, v57
	v_sub_f32_e32 v53, v53, v102
	v_fmac_f32_e32 v105, 0x3f5db3d7, v57
	v_add_f32_e32 v57, v88, v104
	v_sub_f32_e32 v71, v88, v90
	v_add_f32_e32 v80, v58, v59
	v_sub_f32_e32 v60, v83, v92
	v_mul_f32_e32 v83, 0x3f248dbb, v53
	v_add_f32_e32 v57, v90, v57
	s_waitcnt lgkmcnt(0)
	v_fmamk_f32 v87, v64, 0x3f441b7d, v75
	v_fmamk_f32 v89, v65, 0x3f441b7d, v76
	v_mul_f32_e32 v92, 0xbf248dbb, v71
	v_fmamk_f32 v99, v80, 0x3f441b7d, v75
	v_fmamk_f32 v100, v81, 0x3f441b7d, v76
	v_add_f32_e32 v63, v69, v76
	v_mul_f32_e32 v106, 0x3f7c1c5c, v71
	v_fmamk_f32 v107, v66, 0x3f441b7d, v75
	v_add_f32_e32 v57, v57, v76
	v_fmac_f32_e32 v76, 0x3f441b7d, v67
	v_add_f32_e32 v103, v66, v64
	v_fmac_f32_e32 v83, 0x3f7c1c5c, v61
	v_fmac_f32_e32 v87, 0x3e31d0d4, v66
	;; [unrolled: 1-line block ×6, first 2 shown]
	v_fma_f32 v106, 0xbf248dbb, v61, -v106
	v_fmac_f32_e32 v107, 0x3e31d0d4, v80
	v_fmac_f32_e32 v76, 0x3e31d0d4, v81
	v_add_f32_e32 v101, v70, v52
	v_add_f32_e32 v102, v71, v53
	;; [unrolled: 1-line block ×5, first 2 shown]
	v_fmac_f32_e32 v83, 0x3f5db3d7, v60
	v_fmac_f32_e32 v87, -0.5, v68
	v_fmac_f32_e32 v89, -0.5, v69
	v_fmac_f32_e32 v92, 0xbf5db3d7, v60
	v_fmac_f32_e32 v99, -0.5, v68
	v_fmac_f32_e32 v100, -0.5, v69
	;; [unrolled: 3-line block ×3, first 2 shown]
	v_sub_f32_e32 v101, v101, v56
	v_sub_f32_e32 v102, v102, v61
	v_fmac_f32_e32 v62, -0.5, v108
	v_fmac_f32_e32 v63, -0.5, v109
	v_add_f32_e32 v58, v58, v103
	v_fmac_f32_e32 v82, 0x3eaf1d44, v70
	v_fmac_f32_e32 v83, 0x3eaf1d44, v71
	;; [unrolled: 1-line block ×12, first 2 shown]
	v_mul_f32_e32 v110, 0x3f5db3d7, v101
	v_mul_f32_e32 v111, 0x3f5db3d7, v102
	v_fmac_f32_e32 v62, 0x3f5db3d7, v102
	v_fmac_f32_e32 v63, 0xbf5db3d7, v101
	v_add_f32_e32 v52, v59, v58
	v_add_f32_e32 v58, v83, v87
	v_sub_f32_e32 v59, v89, v82
	v_add_f32_e32 v60, v92, v99
	v_sub_f32_e32 v61, v100, v91
	;; [unrolled: 2-line block ×3, first 2 shown]
	v_fma_f32 v68, -2.0, v111, v62
	v_fma_f32 v69, 2.0, v110, v63
	v_add_f32_e32 v56, v52, v75
	v_fma_f32 v52, -2.0, v83, v58
	v_fma_f32 v53, 2.0, v82, v59
	v_fma_f32 v70, -2.0, v92, v60
	v_fma_f32 v71, 2.0, v91, v61
	;; [unrolled: 2-line block ×3, first 2 shown]
	ds_write_b64 v93, v[56:57]
	ds_write_b64 v93, v[58:59] offset:952
	ds_write2_b64 v77, v[60:61], v[62:63] offset0:110 offset1:229
	ds_write2_b64 v79, v[68:69], v[70:71] offset0:74 offset1:193
	ds_write_b64 v93, v[52:53] offset:7616
	ds_write2_b64 v78, v[64:65], v[66:67] offset0:92 offset1:211
	s_waitcnt lgkmcnt(0)
	s_barrier
	buffer_gl0_inv
	s_and_saveexec_b32 s2, vcc_lo
	s_cbranch_execz .LBB0_13
; %bb.12:
	v_add_co_u32 v83, s1, s12, v93
	v_add_co_ci_u32_e64 v87, null, s13, 0, s1
	v_add_co_u32 v75, s1, 0x2000, v83
	v_add_co_ci_u32_e64 v76, s1, 0, v87, s1
	v_add_co_u32 v77, s1, 0x2178, v83
	v_add_co_ci_u32_e64 v78, s1, 0, v87, s1
	global_load_dwordx2 v[75:76], v[75:76], off offset:376
	v_add_co_u32 v79, s1, 0x2800, v83
	v_add_co_ci_u32_e64 v80, s1, 0, v87, s1
	v_add_co_u32 v81, s1, 0x3000, v83
	v_add_co_ci_u32_e64 v82, s1, 0, v87, s1
	s_clause 0x7
	global_load_dwordx2 v[91:92], v[77:78], off offset:504
	global_load_dwordx2 v[119:120], v[77:78], off offset:1008
	;; [unrolled: 1-line block ×8, first 2 shown]
	v_add_co_u32 v77, s1, 0x3800, v83
	v_add_co_ci_u32_e64 v78, s1, 0, v87, s1
	v_add_co_u32 v79, s1, 0x4000, v83
	v_add_co_ci_u32_e64 v80, s1, 0, v87, s1
	s_clause 0x7
	global_load_dwordx2 v[133:134], v[81:82], off offset:816
	global_load_dwordx2 v[135:136], v[81:82], off offset:1320
	;; [unrolled: 1-line block ×8, first 2 shown]
	ds_read_b64 v[77:78], v93
	s_waitcnt vmcnt(16) lgkmcnt(0)
	v_mul_f32_e32 v79, v78, v76
	v_mul_f32_e32 v80, v77, v76
	v_fma_f32 v79, v77, v75, -v79
	v_fmac_f32_e32 v80, v78, v75
	ds_write_b64 v93, v[79:80]
	ds_read2_b64 v[75:78], v93 offset0:63 offset1:126
	ds_read2_b64 v[79:82], v93 offset0:189 offset1:252
	;; [unrolled: 1-line block ×8, first 2 shown]
	s_waitcnt vmcnt(15) lgkmcnt(7)
	v_mul_f32_e32 v150, v76, v92
	v_mul_f32_e32 v149, v75, v92
	s_waitcnt vmcnt(14)
	v_mul_f32_e32 v151, v78, v120
	v_mul_f32_e32 v92, v77, v120
	s_waitcnt vmcnt(13) lgkmcnt(6)
	v_mul_f32_e32 v152, v80, v122
	v_mul_f32_e32 v120, v79, v122
	s_waitcnt vmcnt(12)
	v_mul_f32_e32 v153, v82, v124
	v_mul_f32_e32 v122, v81, v124
	;; [unrolled: 6-line block ×8, first 2 shown]
	v_fma_f32 v148, v75, v91, -v150
	v_fmac_f32_e32 v149, v76, v91
	v_fma_f32 v91, v77, v119, -v151
	v_fmac_f32_e32 v92, v78, v119
	;; [unrolled: 2-line block ×16, first 2 shown]
	ds_write2_b64 v93, v[148:149], v[91:92] offset0:63 offset1:126
	ds_write2_b64 v93, v[119:120], v[121:122] offset0:189 offset1:252
	;; [unrolled: 1-line block ×8, first 2 shown]
.LBB0_13:
	s_or_b32 exec_lo, exec_lo, s2
	s_waitcnt lgkmcnt(0)
	s_barrier
	buffer_gl0_inv
	s_and_saveexec_b32 s1, vcc_lo
	s_cbranch_execz .LBB0_15
; %bb.14:
	v_add_nc_u32_e32 v0, 0x400, v93
	v_add_nc_u32_e32 v1, 0x800, v93
	;; [unrolled: 1-line block ×3, first 2 shown]
	ds_read2_b64 v[56:59], v93 offset1:63
	ds_read2_b64 v[60:63], v93 offset0:126 offset1:189
	v_add_nc_u32_e32 v3, 0x1400, v93
	ds_read2_b64 v[64:67], v0 offset0:124 offset1:187
	v_add_nc_u32_e32 v0, 0x1000, v93
	v_add_nc_u32_e32 v72, 0x1800, v93
	ds_read2_b64 v[68:71], v1 offset0:122 offset1:185
	ds_read2_b64 v[52:55], v2 offset0:120 offset1:183
	;; [unrolled: 1-line block ×5, first 2 shown]
	ds_read_b64 v[85:86], v93 offset:8064
.LBB0_15:
	s_or_b32 exec_lo, exec_lo, s1
	s_waitcnt lgkmcnt(0)
	v_sub_f32_e32 v106, v59, v86
	v_add_f32_e32 v111, v86, v59
	v_add_f32_e32 v99, v85, v58
	v_sub_f32_e32 v108, v61, v3
	v_sub_f32_e32 v100, v58, v85
	v_mul_f32_e32 v91, 0xbf7ee86f, v106
	v_mul_f32_e32 v92, 0x3dbcf732, v111
	;; [unrolled: 1-line block ×3, first 2 shown]
	v_add_f32_e32 v101, v2, v60
	v_add_f32_e32 v115, v3, v61
	v_fma_f32 v72, 0x3dbcf732, v99, -v91
	v_mul_f32_e32 v126, 0xbe3c28d5, v108
	v_mul_f32_e32 v90, 0xbe8c1d8e, v111
	;; [unrolled: 1-line block ×3, first 2 shown]
	v_fmamk_f32 v73, v100, 0xbf7ee86f, v92
	v_fma_f32 v74, 0xbe8c1d8e, v99, -v89
	v_mul_f32_e32 v134, 0xbf1a4643, v111
	v_add_f32_e32 v72, v56, v72
	v_sub_f32_e32 v102, v60, v2
	v_mul_f32_e32 v128, 0xbf7ba420, v115
	v_fma_f32 v103, 0xbf7ba420, v101, -v126
	v_mul_f32_e32 v131, 0x3f06c442, v108
	v_mul_f32_e32 v75, 0xbf06c442, v106
	v_add_f32_e32 v73, v57, v73
	v_add_f32_e32 v74, v56, v74
	v_fmamk_f32 v76, v100, 0xbf763a35, v90
	v_fma_f32 v77, 0xbf1a4643, v99, -v130
	v_fmamk_f32 v78, v100, 0xbf4c4adb, v134
	v_fmamk_f32 v104, v102, 0xbe3c28d5, v128
	v_add_f32_e32 v72, v103, v72
	v_mul_f32_e32 v135, 0xbf59a7d5, v115
	v_fma_f32 v103, 0xbf59a7d5, v101, -v131
	v_mul_f32_e32 v140, 0x3f763a35, v108
	v_mul_f32_e32 v143, 0xbe8c1d8e, v115
	v_fmamk_f32 v79, v99, 0xbf59a7d5, v75
	v_mul_f32_e32 v80, 0xbf59a7d5, v111
	v_add_f32_e32 v76, v57, v76
	v_add_f32_e32 v77, v56, v77
	;; [unrolled: 1-line block ×3, first 2 shown]
	v_mul_f32_e32 v82, 0xbe3c28d5, v106
	v_fma_f32 v75, 0xbf59a7d5, v99, -v75
	v_add_f32_e32 v73, v104, v73
	v_fmamk_f32 v104, v102, 0x3f06c442, v135
	v_add_f32_e32 v74, v103, v74
	v_fma_f32 v103, 0xbe8c1d8e, v101, -v140
	v_mul_f32_e32 v105, 0x3f65296c, v108
	v_fmamk_f32 v107, v102, 0x3f763a35, v143
	v_add_f32_e32 v79, v56, v79
	v_fmamk_f32 v81, v100, 0x3f06c442, v80
	v_mul_f32_e32 v83, 0xbf7ba420, v111
	v_fmamk_f32 v87, v99, 0xbf7ba420, v82
	v_add_f32_e32 v75, v56, v75
	v_add_f32_e32 v76, v104, v76
	v_mul_f32_e32 v104, 0x3ee437d1, v115
	v_add_f32_e32 v77, v103, v77
	v_fmamk_f32 v103, v101, 0x3ee437d1, v105
	v_add_f32_e32 v78, v107, v78
	v_mul_f32_e32 v107, 0x3eb8f4ab, v108
	v_fma_f32 v105, 0x3ee437d1, v101, -v105
	v_fmac_f32_e32 v80, 0xbf06c442, v100
	v_add_f32_e32 v81, v57, v81
	v_fmamk_f32 v88, v100, 0x3e3c28d5, v83
	v_add_f32_e32 v87, v56, v87
	v_fmac_f32_e32 v83, 0xbe3c28d5, v100
	v_fmamk_f32 v109, v102, 0xbf65296c, v104
	v_add_f32_e32 v79, v103, v79
	v_fmamk_f32 v103, v101, 0x3f6eb680, v107
	v_add_f32_e32 v75, v105, v75
	v_mul_f32_e32 v105, 0x3f6eb680, v115
	v_sub_f32_e32 v112, v63, v1
	v_add_f32_e32 v80, v57, v80
	v_add_f32_e32 v88, v57, v88
	;; [unrolled: 1-line block ×3, first 2 shown]
	v_fmac_f32_e32 v104, 0x3f65296c, v102
	v_add_f32_e32 v81, v109, v81
	v_add_f32_e32 v87, v103, v87
	;; [unrolled: 1-line block ×3, first 2 shown]
	v_fmamk_f32 v109, v102, 0xbeb8f4ab, v105
	v_add_f32_e32 v103, v0, v62
	v_mul_f32_e32 v132, 0x3f763a35, v112
	v_fmac_f32_e32 v105, 0x3eb8f4ab, v102
	v_mul_f32_e32 v141, 0x3f2c7751, v112
	v_fma_f32 v82, 0xbf7ba420, v99, -v82
	v_add_f32_e32 v80, v104, v80
	v_sub_f32_e32 v104, v62, v0
	v_mul_f32_e32 v136, 0xbe8c1d8e, v119
	v_add_f32_e32 v88, v109, v88
	v_fma_f32 v109, 0xbe8c1d8e, v103, -v132
	v_add_f32_e32 v83, v105, v83
	v_fma_f32 v105, 0x3f3d2fb0, v103, -v141
	v_mul_f32_e32 v142, 0x3f3d2fb0, v119
	v_mul_f32_e32 v147, 0xbeb8f4ab, v112
	v_add_f32_e32 v82, v56, v82
	v_fma_f32 v107, 0x3f6eb680, v101, -v107
	v_fmamk_f32 v110, v104, 0x3f763a35, v136
	v_add_f32_e32 v72, v109, v72
	v_mul_f32_e32 v150, 0x3f6eb680, v119
	v_add_f32_e32 v74, v105, v74
	v_fmamk_f32 v105, v104, 0x3f2c7751, v142
	v_fma_f32 v109, 0x3f6eb680, v103, -v147
	v_mul_f32_e32 v114, 0x3dbcf732, v119
	v_add_f32_e32 v82, v107, v82
	v_add_f32_e32 v73, v110, v73
	v_mul_f32_e32 v107, 0xbf7ee86f, v112
	v_fmamk_f32 v110, v104, 0xbeb8f4ab, v150
	v_add_f32_e32 v76, v105, v76
	v_add_f32_e32 v77, v109, v77
	v_fmamk_f32 v105, v104, 0x3f7ee86f, v114
	v_mul_f32_e32 v109, 0xbf06c442, v112
	v_fmamk_f32 v113, v103, 0x3dbcf732, v107
	v_add_f32_e32 v78, v110, v78
	v_mul_f32_e32 v110, 0xbf59a7d5, v119
	v_fma_f32 v107, 0x3dbcf732, v103, -v107
	v_add_f32_e32 v81, v105, v81
	v_fmamk_f32 v105, v103, 0xbf59a7d5, v109
	v_sub_f32_e32 v116, v65, v47
	v_add_f32_e32 v123, v47, v65
	v_add_f32_e32 v79, v113, v79
	v_fmamk_f32 v113, v104, 0x3f06c442, v110
	v_add_f32_e32 v75, v107, v75
	v_add_f32_e32 v87, v105, v87
	;; [unrolled: 1-line block ×3, first 2 shown]
	v_mul_f32_e32 v138, 0x3eb8f4ab, v116
	v_fma_f32 v109, 0xbf59a7d5, v103, -v109
	v_fmac_f32_e32 v110, 0xbf06c442, v104
	v_sub_f32_e32 v107, v64, v46
	v_mul_f32_e32 v144, 0x3f6eb680, v123
	v_mul_f32_e32 v146, 0xbf65296c, v116
	v_add_f32_e32 v88, v113, v88
	v_fma_f32 v113, 0x3f6eb680, v105, -v138
	v_add_f32_e32 v82, v109, v82
	v_add_f32_e32 v83, v110, v83
	v_fmamk_f32 v109, v107, 0x3eb8f4ab, v144
	v_mul_f32_e32 v148, 0x3ee437d1, v123
	v_fma_f32 v110, 0x3ee437d1, v105, -v146
	v_mul_f32_e32 v153, 0xbf06c442, v116
	v_fmac_f32_e32 v114, 0xbf7ee86f, v104
	v_add_f32_e32 v72, v113, v72
	v_add_f32_e32 v73, v109, v73
	v_mul_f32_e32 v155, 0xbf59a7d5, v123
	v_fmamk_f32 v109, v107, 0xbf65296c, v148
	v_add_f32_e32 v74, v110, v74
	v_fma_f32 v110, 0xbf59a7d5, v105, -v153
	v_mul_f32_e32 v113, 0x3f4c4adb, v116
	v_add_f32_e32 v80, v114, v80
	v_fmamk_f32 v114, v107, 0xbf06c442, v155
	v_add_f32_e32 v76, v109, v76
	v_mul_f32_e32 v109, 0xbf1a4643, v123
	v_add_f32_e32 v77, v110, v77
	v_fmamk_f32 v110, v105, 0xbf1a4643, v113
	v_fma_f32 v113, 0xbf1a4643, v105, -v113
	v_add_f32_e32 v78, v114, v78
	v_mul_f32_e32 v114, 0x3f2c7751, v116
	v_fmamk_f32 v117, v107, 0xbf4c4adb, v109
	v_fmac_f32_e32 v109, 0x3f4c4adb, v107
	v_add_f32_e32 v75, v113, v75
	v_mul_f32_e32 v113, 0x3f3d2fb0, v123
	v_sub_f32_e32 v120, v67, v45
	v_add_f32_e32 v79, v110, v79
	v_fmamk_f32 v110, v105, 0x3f3d2fb0, v114
	v_add_f32_e32 v81, v117, v81
	v_add_f32_e32 v80, v109, v80
	;; [unrolled: 1-line block ×3, first 2 shown]
	v_fmamk_f32 v117, v107, 0xbf2c7751, v113
	v_add_f32_e32 v109, v44, v66
	v_mul_f32_e32 v145, 0xbf65296c, v120
	v_fmac_f32_e32 v113, 0x3f2c7751, v107
	v_mul_f32_e32 v152, 0xbe3c28d5, v120
	v_add_f32_e32 v87, v110, v87
	v_sub_f32_e32 v110, v66, v44
	v_mul_f32_e32 v149, 0x3ee437d1, v124
	v_add_f32_e32 v88, v117, v88
	v_fma_f32 v117, 0x3ee437d1, v109, -v145
	v_add_f32_e32 v83, v113, v83
	v_fma_f32 v113, 0xbf7ba420, v109, -v152
	v_mul_f32_e32 v154, 0xbf7ba420, v124
	v_mul_f32_e32 v159, 0x3f7ee86f, v120
	v_fma_f32 v114, 0x3f3d2fb0, v105, -v114
	v_fmamk_f32 v118, v110, 0xbf65296c, v149
	v_add_f32_e32 v72, v117, v72
	v_mul_f32_e32 v161, 0x3dbcf732, v124
	v_add_f32_e32 v74, v113, v74
	v_fmamk_f32 v113, v110, 0xbe3c28d5, v154
	v_fma_f32 v117, 0x3dbcf732, v109, -v159
	v_mul_f32_e32 v122, 0x3f6eb680, v124
	v_add_f32_e32 v82, v114, v82
	v_add_f32_e32 v73, v118, v73
	v_mul_f32_e32 v114, 0xbeb8f4ab, v120
	v_fmamk_f32 v118, v110, 0x3f7ee86f, v161
	v_add_f32_e32 v76, v113, v76
	v_add_f32_e32 v77, v117, v77
	v_fmamk_f32 v113, v110, 0x3eb8f4ab, v122
	v_mul_f32_e32 v117, 0xbf4c4adb, v120
	v_fmamk_f32 v121, v109, 0x3f6eb680, v114
	v_add_f32_e32 v78, v118, v78
	v_mul_f32_e32 v118, 0xbf1a4643, v124
	v_fma_f32 v114, 0x3f6eb680, v109, -v114
	v_add_f32_e32 v81, v113, v81
	v_fmamk_f32 v113, v109, 0xbf1a4643, v117
	v_sub_f32_e32 v125, v69, v51
	v_add_f32_e32 v127, v51, v69
	v_add_f32_e32 v79, v121, v79
	v_fmamk_f32 v121, v110, 0x3f4c4adb, v118
	v_add_f32_e32 v75, v114, v75
	v_add_f32_e32 v87, v113, v87
	v_add_f32_e32 v113, v50, v68
	v_mul_f32_e32 v151, 0xbf06c442, v125
	v_fma_f32 v117, 0xbf1a4643, v109, -v117
	v_fmac_f32_e32 v118, 0xbf4c4adb, v110
	v_sub_f32_e32 v114, v68, v50
	v_mul_f32_e32 v156, 0xbf59a7d5, v127
	v_mul_f32_e32 v158, 0x3f7ee86f, v125
	v_fmac_f32_e32 v122, 0xbeb8f4ab, v110
	v_add_f32_e32 v88, v121, v88
	v_fma_f32 v121, 0xbf59a7d5, v113, -v151
	v_add_f32_e32 v82, v117, v82
	v_add_f32_e32 v83, v118, v83
	v_fmamk_f32 v117, v114, 0xbf06c442, v156
	v_mul_f32_e32 v160, 0x3dbcf732, v127
	v_fma_f32 v118, 0x3dbcf732, v113, -v158
	v_mul_f32_e32 v165, 0xbf2c7751, v125
	v_mul_f32_e32 v168, 0x3f3d2fb0, v127
	v_add_f32_e32 v80, v122, v80
	v_add_f32_e32 v72, v121, v72
	;; [unrolled: 1-line block ×3, first 2 shown]
	v_fmamk_f32 v117, v114, 0x3f7ee86f, v160
	v_add_f32_e32 v74, v118, v74
	v_fma_f32 v118, 0x3f3d2fb0, v113, -v165
	v_mul_f32_e32 v121, 0xbe3c28d5, v125
	v_fmamk_f32 v122, v114, 0xbf2c7751, v168
	v_add_f32_e32 v76, v117, v76
	v_mul_f32_e32 v117, 0xbf7ba420, v127
	v_add_f32_e32 v77, v118, v77
	v_fmamk_f32 v118, v113, 0xbf7ba420, v121
	v_add_f32_e32 v78, v122, v78
	v_mul_f32_e32 v122, 0x3f65296c, v125
	v_fmamk_f32 v129, v114, 0x3e3c28d5, v117
	v_fma_f32 v121, 0xbf7ba420, v113, -v121
	v_add_f32_e32 v79, v118, v79
	v_add_f32_e32 v133, v49, v71
	v_fmamk_f32 v118, v113, 0x3ee437d1, v122
	v_fmac_f32_e32 v117, 0xbe3c28d5, v114
	v_add_f32_e32 v81, v129, v81
	v_add_f32_e32 v75, v121, v75
	v_mul_f32_e32 v121, 0x3ee437d1, v127
	v_add_f32_e32 v87, v118, v87
	v_sub_f32_e32 v129, v71, v49
	v_sub_f32_e32 v118, v70, v48
	v_mul_f32_e32 v163, 0xbf1a4643, v133
	v_fma_f32 v122, 0x3ee437d1, v113, -v122
	v_add_f32_e32 v80, v117, v80
	v_fmamk_f32 v137, v114, 0xbf65296c, v121
	v_add_f32_e32 v117, v48, v70
	v_mul_f32_e32 v157, 0x3f4c4adb, v129
	v_fmac_f32_e32 v121, 0x3f65296c, v114
	v_fmamk_f32 v139, v118, 0x3f4c4adb, v163
	v_mul_f32_e32 v164, 0xbeb8f4ab, v129
	v_add_f32_e32 v82, v122, v82
	v_mul_f32_e32 v122, 0x3f2c7751, v129
	v_add_f32_e32 v88, v137, v88
	v_fma_f32 v137, 0xbf1a4643, v117, -v157
	v_add_f32_e32 v83, v121, v83
	v_add_f32_e32 v73, v139, v73
	v_fma_f32 v121, 0x3f6eb680, v117, -v164
	v_mul_f32_e32 v166, 0x3f6eb680, v133
	v_mul_f32_e32 v170, 0xbe3c28d5, v129
	;; [unrolled: 1-line block ×3, first 2 shown]
	v_fmamk_f32 v139, v117, 0x3f3d2fb0, v122
	v_add_f32_e32 v72, v137, v72
	v_add_f32_e32 v175, v121, v74
	v_fmamk_f32 v74, v118, 0xbeb8f4ab, v166
	v_fma_f32 v121, 0xbf7ba420, v117, -v170
	v_fmamk_f32 v137, v118, 0xbe3c28d5, v172
	v_mul_f32_e32 v162, 0x3f3d2fb0, v133
	v_add_f32_e32 v177, v139, v79
	v_mul_f32_e32 v79, 0xbe8c1d8e, v133
	v_add_f32_e32 v76, v74, v76
	v_add_f32_e32 v77, v121, v77
	;; [unrolled: 1-line block ×3, first 2 shown]
	v_fmamk_f32 v74, v118, 0xbf2c7751, v162
	v_mul_f32_e32 v78, 0xbf763a35, v129
	v_fma_f32 v121, 0x3f3d2fb0, v117, -v122
	v_fmac_f32_e32 v162, 0x3f2c7751, v118
	v_fmamk_f32 v122, v118, 0x3f763a35, v79
	v_sub_f32_e32 v137, v53, v55
	v_add_f32_e32 v139, v55, v53
	v_add_f32_e32 v81, v74, v81
	v_fmamk_f32 v74, v117, 0xbe8c1d8e, v78
	v_add_f32_e32 v178, v121, v75
	v_add_f32_e32 v80, v162, v80
	;; [unrolled: 1-line block ×4, first 2 shown]
	v_mul_f32_e32 v162, 0x3f2c7751, v137
	v_sub_f32_e32 v122, v52, v54
	v_mul_f32_e32 v167, 0x3f3d2fb0, v139
	v_add_f32_e32 v179, v74, v87
	v_fma_f32 v74, 0xbe8c1d8e, v117, -v78
	v_fma_f32 v75, 0x3f3d2fb0, v121, -v162
	v_mul_f32_e32 v169, 0xbf4c4adb, v137
	v_fmamk_f32 v78, v122, 0x3f2c7751, v167
	v_mul_f32_e32 v171, 0xbf1a4643, v139
	v_fmac_f32_e32 v79, 0xbf763a35, v118
	v_add_f32_e32 v82, v74, v82
	v_add_f32_e32 v74, v75, v72
	v_fma_f32 v72, 0xbf1a4643, v121, -v169
	v_add_f32_e32 v75, v78, v73
	v_mul_f32_e32 v173, 0x3f65296c, v137
	v_mul_f32_e32 v174, 0x3ee437d1, v139
	v_fmamk_f32 v73, v122, 0xbf4c4adb, v171
	v_mul_f32_e32 v87, 0xbf763a35, v137
	v_add_f32_e32 v83, v79, v83
	v_add_f32_e32 v72, v72, v175
	v_fma_f32 v78, 0x3ee437d1, v121, -v173
	v_fmamk_f32 v79, v122, 0x3f65296c, v174
	v_mul_f32_e32 v175, 0xbe8c1d8e, v139
	v_add_f32_e32 v73, v73, v76
	v_fmamk_f32 v76, v121, 0xbe8c1d8e, v87
	v_add_f32_e32 v78, v78, v77
	v_add_f32_e32 v79, v79, v176
	v_fmamk_f32 v77, v122, 0x3f763a35, v175
	v_fma_f32 v176, 0xbe8c1d8e, v121, -v87
	v_add_f32_e32 v87, v76, v177
	v_mul_f32_e32 v177, 0x3f7ee86f, v137
	v_mul_f32_e32 v181, 0x3dbcf732, v139
	v_add_f32_e32 v88, v77, v81
	v_add_f32_e32 v76, v176, v178
	v_fmac_f32_e32 v175, 0xbf763a35, v122
	v_fmamk_f32 v81, v121, 0x3dbcf732, v177
	v_fmamk_f32 v176, v122, 0xbf7ee86f, v181
	v_fma_f32 v177, 0x3dbcf732, v121, -v177
	v_fmac_f32_e32 v181, 0x3f7ee86f, v122
	v_add_f32_e32 v77, v175, v80
	v_add_f32_e32 v80, v81, v179
	;; [unrolled: 1-line block ×5, first 2 shown]
	s_barrier
	buffer_gl0_inv
	s_and_saveexec_b32 s1, vcc_lo
	s_cbranch_execz .LBB0_17
; %bb.16:
	v_mul_f32_e32 v180, 0xbf4c4adb, v100
	v_mul_f32_e32 v186, 0x3f763a35, v102
	;; [unrolled: 1-line block ×5, first 2 shown]
	v_sub_f32_e32 v134, v134, v180
	v_sub_f32_e32 v143, v143, v186
	v_mul_f32_e32 v198, 0xbf06c442, v107
	v_add_f32_e32 v130, v179, v130
	v_mul_f32_e32 v191, 0x3f6eb680, v103
	v_add_f32_e32 v134, v57, v134
	;; [unrolled: 2-line block ×3, first 2 shown]
	v_add_f32_e32 v130, v56, v130
	v_mul_f32_e32 v197, 0xbf59a7d5, v105
	v_add_f32_e32 v134, v143, v134
	v_sub_f32_e32 v143, v150, v192
	v_mul_f32_e32 v208, 0xbf2c7751, v114
	v_add_f32_e32 v130, v140, v130
	v_add_f32_e32 v140, v191, v147
	v_mul_f32_e32 v178, 0xbf763a35, v100
	v_add_f32_e32 v134, v143, v134
	v_sub_f32_e32 v143, v155, v198
	v_mul_f32_e32 v203, 0x3dbcf732, v109
	v_mul_f32_e32 v155, 0xbe3c28d5, v118
	v_add_f32_e32 v130, v140, v130
	v_add_f32_e32 v140, v197, v153
	;; [unrolled: 1-line block ×3, first 2 shown]
	v_sub_f32_e32 v143, v161, v204
	v_mul_f32_e32 v177, 0xbe8c1d8e, v99
	v_mul_f32_e32 v184, 0x3f06c442, v102
	;; [unrolled: 1-line block ×3, first 2 shown]
	v_add_f32_e32 v130, v140, v130
	v_add_f32_e32 v134, v143, v134
	v_sub_f32_e32 v143, v168, v208
	v_mul_f32_e32 v168, 0x3f65296c, v122
	v_add_f32_e32 v140, v203, v159
	v_sub_f32_e32 v90, v90, v178
	v_mul_f32_e32 v183, 0xbf59a7d5, v101
	;; [unrolled: 3-line block ×3, first 2 shown]
	v_mul_f32_e32 v192, 0xbf7ba420, v117
	v_add_f32_e32 v130, v140, v130
	v_add_f32_e32 v140, v186, v165
	;; [unrolled: 1-line block ×3, first 2 shown]
	v_sub_f32_e32 v143, v174, v168
	v_add_f32_e32 v159, v57, v90
	v_sub_f32_e32 v135, v135, v184
	v_add_f32_e32 v89, v177, v89
	v_mul_f32_e32 v176, 0xbf7ee86f, v100
	v_mul_f32_e32 v189, 0x3f3d2fb0, v103
	;; [unrolled: 1-line block ×4, first 2 shown]
	v_add_f32_e32 v90, v143, v134
	v_add_f32_e32 v130, v140, v130
	;; [unrolled: 1-line block ×4, first 2 shown]
	v_sub_f32_e32 v140, v142, v190
	v_add_f32_e32 v89, v56, v89
	v_add_f32_e32 v131, v183, v131
	v_mul_f32_e32 v182, 0xbe3c28d5, v102
	v_mul_f32_e32 v195, 0x3ee437d1, v105
	;; [unrolled: 1-line block ×3, first 2 shown]
	v_add_f32_e32 v130, v134, v130
	v_add_f32_e32 v134, v155, v173
	;; [unrolled: 1-line block ×3, first 2 shown]
	v_sub_f32_e32 v140, v148, v196
	v_add_f32_e32 v131, v131, v89
	v_add_f32_e32 v141, v189, v141
	v_sub_f32_e32 v92, v92, v176
	v_mul_f32_e32 v188, 0x3f763a35, v104
	v_mul_f32_e32 v201, 0xbf7ba420, v109
	;; [unrolled: 1-line block ×3, first 2 shown]
	v_add_f32_e32 v89, v134, v130
	v_add_f32_e32 v130, v140, v135
	v_sub_f32_e32 v134, v154, v202
	v_add_f32_e32 v131, v141, v131
	v_add_f32_e32 v135, v195, v146
	v_add_f32_e32 v92, v57, v92
	v_sub_f32_e32 v128, v128, v182
	v_mul_f32_e32 v175, 0x3dbcf732, v99
	v_mul_f32_e32 v194, 0x3eb8f4ab, v107
	;; [unrolled: 1-line block ×4, first 2 shown]
	v_add_f32_e32 v130, v134, v130
	v_sub_f32_e32 v134, v160, v207
	v_add_f32_e32 v131, v135, v131
	v_add_f32_e32 v135, v201, v152
	;; [unrolled: 1-line block ×3, first 2 shown]
	v_sub_f32_e32 v128, v136, v188
	v_mul_f32_e32 v181, 0xbf7ba420, v101
	v_mul_f32_e32 v200, 0xbf65296c, v110
	v_mul_f32_e32 v153, 0xbf4c4adb, v122
	v_add_f32_e32 v130, v134, v130
	v_sub_f32_e32 v134, v166, v179
	v_add_f32_e32 v131, v135, v131
	v_add_f32_e32 v135, v206, v158
	;; [unrolled: 1-line block ×3, first 2 shown]
	v_sub_f32_e32 v128, v144, v194
	v_add_f32_e32 v91, v175, v91
	v_mul_f32_e32 v187, 0xbe8c1d8e, v103
	v_mul_f32_e32 v205, 0xbf06c442, v114
	;; [unrolled: 1-line block ×3, first 2 shown]
	v_add_f32_e32 v130, v134, v130
	v_sub_f32_e32 v134, v171, v153
	v_add_f32_e32 v131, v135, v131
	v_add_f32_e32 v128, v128, v92
	v_sub_f32_e32 v135, v149, v200
	v_add_f32_e32 v91, v56, v91
	v_add_f32_e32 v126, v181, v126
	v_mul_f32_e32 v193, 0x3f6eb680, v105
	v_mul_f32_e32 v210, 0x3f4c4adb, v118
	;; [unrolled: 1-line block ×3, first 2 shown]
	v_add_f32_e32 v136, v150, v164
	v_add_f32_e32 v92, v134, v130
	;; [unrolled: 1-line block ×3, first 2 shown]
	v_sub_f32_e32 v130, v156, v205
	v_add_f32_e32 v91, v126, v91
	v_add_f32_e32 v126, v187, v132
	v_mul_f32_e32 v199, 0x3ee437d1, v109
	v_add_f32_e32 v131, v136, v131
	v_add_f32_e32 v132, v161, v169
	;; [unrolled: 1-line block ×3, first 2 shown]
	v_sub_f32_e32 v130, v163, v210
	v_mul_f32_e32 v136, 0x3ee437d1, v111
	v_add_f32_e32 v126, v126, v91
	v_add_f32_e32 v134, v193, v138
	v_mul_f32_e32 v180, 0xbf59a7d5, v113
	v_mul_f32_e32 v147, 0x3f2c7751, v122
	v_add_f32_e32 v91, v132, v131
	v_add_f32_e32 v128, v130, v128
	v_fmamk_f32 v130, v100, 0x3f65296c, v136
	v_mul_f32_e32 v132, 0xbf1a4643, v115
	v_add_f32_e32 v126, v134, v126
	v_add_f32_e32 v131, v199, v145
	v_mul_f32_e32 v209, 0xbf1a4643, v117
	v_sub_f32_e32 v134, v167, v147
	v_add_f32_e32 v130, v57, v130
	v_fmamk_f32 v135, v102, 0x3f4c4adb, v132
	v_mul_f32_e32 v138, 0xbf7ba420, v119
	v_add_f32_e32 v126, v131, v126
	v_add_f32_e32 v140, v180, v151
	;; [unrolled: 1-line block ×4, first 2 shown]
	v_fmamk_f32 v130, v104, 0xbe3c28d5, v138
	v_mul_f32_e32 v141, 0xbe8c1d8e, v123
	v_add_f32_e32 v126, v140, v126
	v_add_f32_e32 v134, v209, v157
	v_mul_f32_e32 v140, 0xbf65296c, v106
	v_add_f32_e32 v128, v130, v128
	v_fmamk_f32 v130, v107, 0xbf763a35, v141
	v_mul_f32_e32 v142, 0x3f3d2fb0, v124
	v_add_f32_e32 v126, v134, v126
	v_fmamk_f32 v134, v99, 0x3ee437d1, v140
	v_mul_f32_e32 v143, 0xbf4c4adb, v108
	v_mul_f32_e32 v185, 0x3f3d2fb0, v121
	v_add_f32_e32 v128, v130, v128
	v_fmamk_f32 v130, v110, 0xbf2c7751, v142
	v_mul_f32_e32 v144, 0x3f6eb680, v127
	v_add_f32_e32 v134, v56, v134
	v_fmamk_f32 v135, v101, 0xbf1a4643, v143
	;; [unrolled: 3-line block ×4, first 2 shown]
	v_mul_f32_e32 v147, 0x3f763a35, v116
	v_add_f32_e32 v148, v185, v162
	v_add_f32_e32 v128, v130, v128
	v_fmamk_f32 v149, v118, 0x3f7ee86f, v146
	v_add_f32_e32 v134, v135, v134
	v_fmamk_f32 v135, v105, 0xbe8c1d8e, v147
	v_mul_f32_e32 v150, 0x3f2c7751, v120
	v_add_f32_e32 v130, v148, v126
	v_mul_f32_e32 v148, 0x3f3d2fb0, v111
	v_add_f32_e32 v126, v149, v128
	v_add_f32_e32 v128, v135, v134
	v_fmamk_f32 v134, v109, 0x3f3d2fb0, v150
	v_mul_f32_e32 v149, 0xbeb8f4ab, v125
	v_mul_f32_e32 v151, 0xbf59a7d5, v139
	v_fmamk_f32 v135, v100, 0x3f2c7751, v148
	v_mul_f32_e32 v152, 0x3dbcf732, v115
	v_add_f32_e32 v128, v134, v128
	v_fmamk_f32 v134, v113, 0x3f6eb680, v149
	v_mul_f32_e32 v153, 0xbf7ee86f, v129
	v_add_f32_e32 v135, v57, v135
	v_fmamk_f32 v154, v102, 0x3f7ee86f, v152
	v_mul_f32_e32 v155, 0xbf1a4643, v119
	v_fmamk_f32 v156, v122, 0x3f06c442, v151
	v_add_f32_e32 v128, v134, v128
	v_fmamk_f32 v134, v117, 0x3dbcf732, v153
	v_add_f32_e32 v154, v154, v135
	v_fmamk_f32 v157, v104, 0x3f4c4adb, v155
	v_mul_f32_e32 v158, 0xbf7ba420, v123
	v_add_f32_e32 v135, v156, v126
	v_mul_f32_e32 v156, 0xbf2c7751, v106
	v_add_f32_e32 v126, v134, v128
	v_add_f32_e32 v128, v157, v154
	v_fmamk_f32 v134, v107, 0x3e3c28d5, v158
	v_mul_f32_e32 v154, 0xbf59a7d5, v124
	v_fmamk_f32 v159, v99, 0x3f3d2fb0, v156
	v_mul_f32_e32 v160, 0xbf7ee86f, v108
	v_mul_f32_e32 v161, 0xbe8c1d8e, v127
	v_add_f32_e32 v128, v134, v128
	v_fmamk_f32 v134, v110, 0xbf06c442, v154
	v_add_f32_e32 v159, v56, v159
	v_fmamk_f32 v162, v101, 0x3dbcf732, v160
	v_mul_f32_e32 v163, 0xbf4c4adb, v112
	v_mul_f32_e32 v157, 0xbf06c442, v137
	v_add_f32_e32 v128, v134, v128
	v_fmamk_f32 v134, v114, 0xbf763a35, v161
	v_mul_f32_e32 v164, 0x3ee437d1, v133
	v_add_f32_e32 v159, v162, v159
	v_fmamk_f32 v162, v103, 0xbf1a4643, v163
	;; [unrolled: 3-line block ×3, first 2 shown]
	v_add_f32_e32 v128, v134, v128
	v_fmamk_f32 v167, v118, 0xbf65296c, v164
	v_add_f32_e32 v159, v162, v159
	v_fmamk_f32 v162, v105, 0xbf7ba420, v165
	v_mul_f32_e32 v168, 0x3f06c442, v120
	v_add_f32_e32 v59, v61, v59
	v_add_f32_e32 v58, v58, v56
	;; [unrolled: 1-line block ×5, first 2 shown]
	v_fmamk_f32 v159, v109, 0xbf59a7d5, v168
	v_mul_f32_e32 v162, 0x3f763a35, v125
	v_add_f32_e32 v59, v63, v59
	v_add_f32_e32 v58, v60, v58
	v_mul_f32_e32 v166, 0x3f6eb680, v139
	v_add_f32_e32 v128, v159, v128
	v_fmamk_f32 v159, v113, 0xbe8c1d8e, v162
	v_mul_f32_e32 v169, 0x3f65296c, v129
	v_add_f32_e32 v59, v65, v59
	v_add_f32_e32 v58, v62, v58
	v_fmamk_f32 v171, v122, 0xbeb8f4ab, v166
	v_add_f32_e32 v159, v159, v128
	v_fmamk_f32 v172, v117, 0x3ee437d1, v169
	v_mul_f32_e32 v61, 0x3eb8f4ab, v137
	v_add_f32_e32 v59, v67, v59
	v_add_f32_e32 v58, v64, v58
	;; [unrolled: 1-line block ×4, first 2 shown]
	v_fmamk_f32 v63, v121, 0x3f6eb680, v61
	v_mul_f32_e32 v65, 0xbeb8f4ab, v106
	v_add_f32_e32 v59, v69, v59
	v_add_f32_e32 v58, v66, v58
	v_mul_f32_e32 v60, 0xbf1a4643, v127
	v_add_f32_e32 v127, v63, v126
	v_fmamk_f32 v63, v99, 0x3f6eb680, v65
	v_mul_f32_e32 v64, 0xbf2c7751, v108
	v_add_f32_e32 v59, v71, v59
	v_add_f32_e32 v58, v68, v58
	v_mul_f32_e32 v68, 0xbf65296c, v112
	v_add_f32_e32 v63, v56, v63
	v_fmamk_f32 v67, v101, 0x3f3d2fb0, v64
	v_add_f32_e32 v53, v53, v59
	v_add_f32_e32 v58, v70, v58
	v_fmamk_f32 v59, v103, 0x3ee437d1, v68
	v_mul_f32_e32 v111, 0x3f6eb680, v111
	v_add_f32_e32 v63, v67, v63
	v_mul_f32_e32 v67, 0xbf7ee86f, v116
	v_add_f32_e32 v53, v55, v53
	v_add_f32_e32 v52, v52, v58
	v_fmac_f32_e32 v136, 0xbf65296c, v100
	v_add_f32_e32 v55, v59, v63
	v_fmamk_f32 v58, v105, 0x3dbcf732, v67
	v_mul_f32_e32 v59, 0xbf763a35, v120
	v_add_f32_e32 v49, v49, v53
	v_add_f32_e32 v52, v54, v52
	v_fmamk_f32 v167, v100, 0x3eb8f4ab, v111
	v_add_f32_e32 v54, v58, v55
	v_fmamk_f32 v55, v109, 0xbe8c1d8e, v59
	v_add_f32_e32 v49, v51, v49
	v_add_f32_e32 v48, v48, v52
	v_mul_f32_e32 v51, 0xbf4c4adb, v125
	v_mul_f32_e32 v115, 0x3f3d2fb0, v115
	v_add_f32_e32 v54, v55, v54
	v_add_f32_e32 v49, v45, v49
	v_add_f32_e32 v48, v50, v48
	v_fmamk_f32 v50, v113, 0xbf1a4643, v51
	v_mul_f32_e32 v55, 0xbf06c442, v129
	v_fmac_f32_e32 v132, 0xbf4c4adb, v102
	v_add_f32_e32 v47, v47, v49
	v_add_f32_e32 v44, v44, v48
	;; [unrolled: 1-line block ×3, first 2 shown]
	v_fmamk_f32 v49, v117, 0xbf59a7d5, v55
	v_mul_f32_e32 v50, 0xbe3c28d5, v137
	v_add_f32_e32 v1, v1, v47
	v_add_f32_e32 v44, v46, v44
	;; [unrolled: 1-line block ×4, first 2 shown]
	v_fmamk_f32 v47, v121, 0xbf7ba420, v50
	v_add_f32_e32 v1, v3, v1
	v_add_f32_e32 v0, v0, v44
	;; [unrolled: 1-line block ×3, first 2 shown]
	v_fmamk_f32 v170, v102, 0x3f2c7751, v115
	v_add_f32_e32 v44, v47, v46
	v_fma_f32 v46, 0x3ee437d1, v99, -v140
	v_mul_f32_e32 v119, 0x3ee437d1, v119
	v_add_f32_e32 v0, v2, v0
	v_add_f32_e32 v2, v132, v3
	v_fmac_f32_e32 v138, 0x3e3c28d5, v104
	v_add_f32_e32 v3, v56, v46
	v_fma_f32 v46, 0xbf1a4643, v101, -v143
	v_fmac_f32_e32 v148, 0xbf2c7751, v100
	v_add_f32_e32 v167, v170, v167
	v_fmamk_f32 v170, v104, 0x3f65296c, v119
	v_mul_f32_e32 v123, 0x3dbcf732, v123
	v_add_f32_e32 v2, v138, v2
	v_fmac_f32_e32 v141, 0x3f763a35, v107
	v_add_f32_e32 v3, v46, v3
	v_fma_f32 v46, 0xbf7ba420, v103, -v145
	v_add_f32_e32 v47, v57, v148
	v_fmac_f32_e32 v152, 0xbf7ee86f, v102
	v_add_f32_e32 v159, v170, v167
	v_fmamk_f32 v167, v107, 0x3f7ee86f, v123
	v_mul_f32_e32 v124, 0xbe8c1d8e, v124
	v_add_f32_e32 v2, v141, v2
	v_fmac_f32_e32 v142, 0x3f2c7751, v110
	v_add_f32_e32 v3, v46, v3
	v_fma_f32 v46, 0xbe8c1d8e, v105, -v147
	v_add_f32_e32 v47, v152, v47
	v_fmac_f32_e32 v155, 0xbf4c4adb, v104
	v_add_f32_e32 v159, v167, v159
	v_fmamk_f32 v167, v110, 0x3f763a35, v124
	v_add_f32_e32 v2, v142, v2
	v_fmac_f32_e32 v144, 0xbeb8f4ab, v114
	v_add_f32_e32 v3, v46, v3
	v_fma_f32 v46, 0x3f3d2fb0, v109, -v150
	v_add_f32_e32 v47, v155, v47
	v_fmac_f32_e32 v158, 0xbe3c28d5, v107
	v_add_f32_e32 v159, v167, v159
	v_fmamk_f32 v62, v114, 0x3f4c4adb, v60
	v_mul_f32_e32 v66, 0xbf59a7d5, v133
	v_add_f32_e32 v2, v144, v2
	v_fmac_f32_e32 v146, 0xbf7ee86f, v118
	v_add_f32_e32 v3, v46, v3
	v_fma_f32 v46, 0x3f6eb680, v113, -v149
	v_add_f32_e32 v47, v158, v47
	v_fmac_f32_e32 v154, 0x3f06c442, v110
	v_add_f32_e32 v62, v62, v159
	v_fmamk_f32 v69, v118, 0x3f06c442, v66
	v_mul_f32_e32 v53, 0xbf7ba420, v139
	v_add_f32_e32 v2, v146, v2
	v_fmac_f32_e32 v151, 0xbf06c442, v122
	v_add_f32_e32 v46, v46, v3
	v_fma_f32 v48, 0x3dbcf732, v117, -v153
	v_add_f32_e32 v47, v154, v47
	v_fmac_f32_e32 v161, 0x3f763a35, v114
	v_add_f32_e32 v62, v69, v62
	v_fmamk_f32 v52, v122, 0x3e3c28d5, v53
	v_add_f32_e32 v3, v151, v2
	v_fma_f32 v2, 0x3f3d2fb0, v99, -v156
	v_add_f32_e32 v46, v48, v46
	v_fma_f32 v48, 0xbf59a7d5, v121, -v157
	v_add_f32_e32 v47, v161, v47
	v_fmac_f32_e32 v164, 0x3f65296c, v118
	v_add_f32_e32 v45, v52, v62
	v_add_f32_e32 v49, v56, v2
	v_fma_f32 v52, 0x3dbcf732, v101, -v160
	v_add_f32_e32 v2, v48, v46
	v_fmac_f32_e32 v111, 0xbeb8f4ab, v100
	v_add_f32_e32 v46, v164, v47
	v_fma_f32 v47, 0x3f6eb680, v99, -v65
	v_add_f32_e32 v48, v52, v49
	v_fma_f32 v49, 0xbf1a4643, v103, -v163
	v_add_f32_e32 v52, v57, v111
	v_fmac_f32_e32 v115, 0xbf2c7751, v102
	v_add_f32_e32 v47, v56, v47
	v_fma_f32 v54, 0x3f3d2fb0, v101, -v64
	;; [unrolled: 6-line block ×6, first 2 shown]
	v_add_f32_e32 v48, v49, v48
	v_fmac_f32_e32 v66, 0xbf06c442, v118
	v_add_f32_e32 v49, v60, v52
	v_mov_b32_e32 v54, 3
	v_add_f32_e32 v47, v51, v47
	v_fma_f32 v51, 0xbf59a7d5, v117, -v55
	v_add_f32_e32 v1, v86, v1
	v_add_f32_e32 v0, v85, v0
	v_fmac_f32_e32 v166, 0x3eb8f4ab, v122
	v_fma_f32 v52, 0x3f6eb680, v121, -v61
	v_add_f32_e32 v49, v66, v49
	v_fmac_f32_e32 v53, 0xbe3c28d5, v122
	v_add_f32_e32 v51, v51, v47
	v_fma_f32 v50, 0xbf7ba420, v121, -v50
	v_lshlrev_b32_sdwa v54, v54, v95 dst_sel:DWORD dst_unused:UNUSED_PAD src0_sel:DWORD src1_sel:WORD_0
	v_add_f32_e32 v47, v166, v46
	v_add_f32_e32 v46, v52, v48
	;; [unrolled: 1-line block ×4, first 2 shown]
	ds_write2_b64 v54, v[0:1], v[44:45] offset1:1
	ds_write2_b64 v54, v[127:128], v[134:135] offset0:2 offset1:3
	ds_write2_b64 v54, v[130:131], v[91:92] offset0:4 offset1:5
	;; [unrolled: 1-line block ×7, first 2 shown]
	ds_write_b64 v54, v[48:49] offset:128
.LBB0_17:
	s_or_b32 exec_lo, exec_lo, s1
	v_add_nc_u32_e32 v54, 0x800, v93
	v_add_nc_u32_e32 v55, 0x1000, v93
	s_waitcnt lgkmcnt(0)
	s_barrier
	buffer_gl0_inv
	ds_read2_b64 v[0:3], v93 offset1:153
	ds_read2_b64 v[48:51], v54 offset0:50 offset1:203
	ds_read2_b64 v[44:47], v55 offset0:100 offset1:253
	ds_read_b64 v[52:53], v93 offset:7344
	s_and_saveexec_b32 s1, s0
	s_cbranch_execz .LBB0_19
; %bb.18:
	v_add_nc_u32_e32 v56, 0x1a00, v93
	ds_read_b64 v[87:88], v93 offset:952
	ds_read2_b64 v[80:83], v54 offset0:16 offset1:169
	ds_read2_b64 v[76:79], v55 offset0:66 offset1:219
	;; [unrolled: 1-line block ×3, first 2 shown]
.LBB0_19:
	s_or_b32 exec_lo, exec_lo, s1
	s_waitcnt lgkmcnt(3)
	v_mul_f32_e32 v54, v25, v3
	v_mul_f32_e32 v25, v25, v2
	s_waitcnt lgkmcnt(2)
	v_mul_f32_e32 v55, v27, v49
	v_mul_f32_e32 v27, v27, v48
	s_waitcnt lgkmcnt(0)
	v_fmac_f32_e32 v54, v24, v2
	v_fma_f32 v2, v24, v3, -v25
	v_mul_f32_e32 v3, v21, v51
	v_mul_f32_e32 v21, v21, v50
	v_fmac_f32_e32 v55, v26, v48
	v_fma_f32 v25, v26, v49, -v27
	v_mul_f32_e32 v26, v17, v47
	v_fmac_f32_e32 v3, v20, v50
	v_fma_f32 v20, v20, v51, -v21
	v_mul_f32_e32 v21, v19, v53
	v_mul_f32_e32 v19, v19, v52
	;; [unrolled: 1-line block ×5, first 2 shown]
	v_fmac_f32_e32 v21, v18, v52
	v_fma_f32 v18, v18, v53, -v19
	v_fmac_f32_e32 v26, v16, v46
	v_fma_f32 v16, v16, v47, -v17
	;; [unrolled: 2-line block ×3, first 2 shown]
	v_add_f32_e32 v17, v54, v21
	v_add_f32_e32 v22, v2, v18
	v_sub_f32_e32 v2, v2, v18
	v_add_f32_e32 v18, v55, v26
	v_add_f32_e32 v23, v25, v16
	v_sub_f32_e32 v26, v55, v26
	v_sub_f32_e32 v16, v25, v16
	v_add_f32_e32 v25, v3, v24
	v_add_f32_e32 v27, v20, v19
	v_sub_f32_e32 v3, v24, v3
	;; [unrolled: 4-line block ×3, first 2 shown]
	v_sub_f32_e32 v44, v18, v17
	v_sub_f32_e32 v45, v23, v22
	;; [unrolled: 1-line block ×6, first 2 shown]
	v_add_f32_e32 v46, v3, v26
	v_add_f32_e32 v47, v19, v16
	v_sub_f32_e32 v48, v3, v26
	v_sub_f32_e32 v49, v19, v16
	v_add_f32_e32 v20, v25, v20
	v_add_f32_e32 v24, v27, v24
	v_sub_f32_e32 v26, v26, v21
	v_sub_f32_e32 v16, v16, v2
	;; [unrolled: 1-line block ×4, first 2 shown]
	v_add_f32_e32 v21, v46, v21
	v_add_f32_e32 v2, v47, v2
	;; [unrolled: 1-line block ×4, first 2 shown]
	v_mul_f32_e32 v17, 0x3f4a47b2, v17
	v_mul_f32_e32 v22, 0x3f4a47b2, v22
	;; [unrolled: 1-line block ×8, first 2 shown]
	v_fmamk_f32 v20, v20, 0xbf955555, v0
	v_fmamk_f32 v24, v24, 0xbf955555, v1
	;; [unrolled: 1-line block ×4, first 2 shown]
	v_fma_f32 v25, 0x3f3bfb3b, v44, -v25
	v_fma_f32 v27, 0x3f3bfb3b, v45, -v27
	;; [unrolled: 1-line block ×4, first 2 shown]
	v_fmamk_f32 v44, v3, 0xbeae86e6, v46
	v_fmamk_f32 v45, v19, 0xbeae86e6, v47
	v_fma_f32 v26, 0xbf5ff5aa, v26, -v46
	v_fma_f32 v46, 0xbf5ff5aa, v16, -v47
	;; [unrolled: 1-line block ×4, first 2 shown]
	v_add_f32_e32 v49, v18, v20
	v_add_f32_e32 v50, v23, v24
	v_fmac_f32_e32 v44, 0xbee1c552, v21
	v_fmac_f32_e32 v45, 0xbee1c552, v2
	v_add_f32_e32 v23, v25, v20
	v_add_f32_e32 v25, v27, v24
	;; [unrolled: 1-line block ×4, first 2 shown]
	v_fmac_f32_e32 v26, 0xbee1c552, v21
	v_fmac_f32_e32 v48, 0xbee1c552, v2
	;; [unrolled: 1-line block ×4, first 2 shown]
	v_add_f32_e32 v2, v45, v49
	v_sub_f32_e32 v3, v50, v44
	v_add_f32_e32 v16, v48, v27
	v_sub_f32_e32 v17, v24, v47
	v_sub_f32_e32 v18, v23, v46
	v_add_f32_e32 v19, v26, v25
	v_add_f32_e32 v20, v46, v23
	v_sub_f32_e32 v21, v25, v26
	v_sub_f32_e32 v22, v27, v48
	v_add_f32_e32 v23, v47, v24
	v_sub_f32_e32 v24, v49, v45
	v_add_f32_e32 v25, v44, v50
	s_barrier
	buffer_gl0_inv
	ds_write2_b64 v98, v[0:1], v[2:3] offset1:17
	ds_write2_b64 v98, v[16:17], v[18:19] offset0:34 offset1:51
	ds_write2_b64 v98, v[20:21], v[22:23] offset0:68 offset1:85
	ds_write_b64 v98, v[24:25] offset:816
	s_and_saveexec_b32 s1, s0
	s_cbranch_execz .LBB0_21
; %bb.20:
	v_mul_f32_e32 v0, v7, v79
	v_mul_f32_e32 v2, v5, v77
	;; [unrolled: 1-line block ×10, first 2 shown]
	v_fmac_f32_e32 v0, v6, v78
	v_fmac_f32_e32 v2, v4, v76
	;; [unrolled: 1-line block ×5, first 2 shown]
	v_fma_f32 v14, v14, v75, -v1
	v_mul_f32_e32 v1, v13, v72
	v_mul_f32_e32 v11, v11, v82
	v_fma_f32 v8, v8, v81, -v9
	v_fmac_f32_e32 v18, v12, v72
	v_fma_f32 v4, v4, v77, -v5
	v_fma_f32 v5, v6, v79, -v7
	v_sub_f32_e32 v15, v0, v2
	v_fma_f32 v9, v12, v73, -v1
	v_fma_f32 v10, v10, v83, -v11
	v_add_f32_e32 v6, v14, v8
	v_sub_f32_e32 v11, v17, v18
	v_add_f32_e32 v1, v4, v5
	v_sub_f32_e32 v12, v3, v16
	v_add_f32_e32 v7, v9, v10
	v_add_f32_e32 v16, v16, v3
	v_sub_f32_e32 v19, v15, v11
	v_sub_f32_e32 v20, v6, v1
	;; [unrolled: 1-line block ×3, first 2 shown]
	v_add_f32_e32 v15, v15, v11
	v_sub_f32_e32 v11, v11, v12
	v_add_f32_e32 v13, v7, v6
	v_mul_f32_e32 v19, 0x3f08b237, v19
	v_mul_f32_e32 v20, 0x3f4a47b2, v20
	v_sub_f32_e32 v22, v1, v7
	v_add_f32_e32 v0, v2, v0
	v_add_f32_e32 v2, v18, v17
	v_sub_f32_e32 v4, v5, v4
	v_sub_f32_e32 v5, v10, v9
	;; [unrolled: 1-line block ×3, first 2 shown]
	v_mul_f32_e32 v25, 0xbf5ff5aa, v11
	v_add_f32_e32 v13, v1, v13
	v_fmamk_f32 v23, v21, 0xbeae86e6, v19
	v_add_f32_e32 v15, v15, v12
	v_fmamk_f32 v24, v22, 0x3d64c772, v20
	v_mul_f32_e32 v17, 0x3d64c772, v22
	v_sub_f32_e32 v18, v16, v0
	v_add_f32_e32 v22, v2, v16
	v_sub_f32_e32 v14, v4, v5
	v_sub_f32_e32 v12, v8, v4
	v_add_f32_e32 v4, v4, v5
	v_fma_f32 v21, 0x3eae86e6, v21, -v25
	v_sub_f32_e32 v25, v5, v8
	v_add_f32_e32 v1, v88, v13
	v_sub_f32_e32 v9, v0, v2
	v_mul_f32_e32 v10, 0x3f4a47b2, v18
	v_add_f32_e32 v18, v0, v22
	v_sub_f32_e32 v6, v7, v6
	v_add_f32_e32 v4, v4, v8
	v_mul_f32_e32 v8, 0xbf5ff5aa, v25
	v_fmamk_f32 v13, v13, 0xbf955555, v1
	v_mul_f32_e32 v22, 0x3d64c772, v9
	v_add_f32_e32 v0, v87, v18
	v_mul_f32_e32 v14, 0x3f08b237, v14
	v_fma_f32 v20, 0xbf3bfb3b, v6, -v20
	v_sub_f32_e32 v2, v2, v16
	v_fma_f32 v26, 0x3eae86e6, v12, -v8
	v_fma_f32 v6, 0x3f3bfb3b, v6, -v17
	;; [unrolled: 1-line block ×3, first 2 shown]
	v_fmamk_f32 v9, v9, 0x3d64c772, v10
	v_fmamk_f32 v7, v18, 0xbf955555, v0
	;; [unrolled: 1-line block ×3, first 2 shown]
	v_fma_f32 v10, 0xbf3bfb3b, v2, -v10
	v_fma_f32 v2, 0x3f3bfb3b, v2, -v22
	v_add_f32_e32 v6, v6, v13
	v_fmac_f32_e32 v8, 0xbee1c552, v15
	v_mov_b32_e32 v11, 0x77
	v_fma_f32 v14, 0xbf5ff5aa, v25, -v14
	v_fmac_f32_e32 v23, 0xbee1c552, v15
	v_add_f32_e32 v24, v24, v13
	v_add_f32_e32 v16, v20, v13
	;; [unrolled: 1-line block ×3, first 2 shown]
	v_fmac_f32_e32 v18, 0xbee1c552, v4
	v_add_f32_e32 v10, v10, v7
	v_add_f32_e32 v2, v2, v7
	v_sub_f32_e32 v7, v6, v8
	v_add_f32_e32 v9, v8, v6
	v_mul_u32_u24_sdwa v6, v96, v11 dst_sel:DWORD dst_unused:UNUSED_PAD src0_sel:WORD_0 src1_sel:DWORD
	v_fmac_f32_e32 v21, 0xbee1c552, v15
	v_fmac_f32_e32 v26, 0xbee1c552, v4
	;; [unrolled: 1-line block ×3, first 2 shown]
	v_sub_f32_e32 v13, v24, v23
	v_add_f32_e32 v12, v18, v20
	v_add_lshl_u32 v15, v6, v97, 3
	v_sub_f32_e32 v4, v10, v26
	v_sub_f32_e32 v8, v2, v14
	;; [unrolled: 1-line block ×3, first 2 shown]
	v_add_f32_e32 v10, v26, v10
	v_add_f32_e32 v5, v21, v16
	;; [unrolled: 1-line block ×4, first 2 shown]
	v_sub_f32_e32 v2, v20, v18
	ds_write2_b64 v15, v[0:1], v[12:13] offset1:17
	ds_write2_b64 v15, v[10:11], v[8:9] offset0:34 offset1:51
	ds_write2_b64 v15, v[6:7], v[4:5] offset0:68 offset1:85
	ds_write_b64 v15, v[2:3] offset:816
.LBB0_21:
	s_or_b32 exec_lo, exec_lo, s1
	s_waitcnt lgkmcnt(0)
	s_barrier
	buffer_gl0_inv
	ds_read2_b64 v[3:6], v93 offset0:119 offset1:238
	v_add_nc_u32_e32 v2, 0x800, v93
	v_add_nc_u32_e32 v1, 0x1000, v93
	;; [unrolled: 1-line block ×3, first 2 shown]
	ds_read2_b64 v[7:10], v2 offset0:101 offset1:220
	ds_read2_b64 v[11:14], v1 offset0:83 offset1:202
	ds_read_b64 v[19:20], v93
	ds_read2_b64 v[15:18], v0 offset0:65 offset1:184
	s_waitcnt lgkmcnt(4)
	v_mul_f32_e32 v21, v41, v4
	v_mul_f32_e32 v22, v41, v3
	;; [unrolled: 1-line block ×4, first 2 shown]
	v_fmac_f32_e32 v21, v40, v3
	v_fma_f32 v3, v40, v4, -v22
	v_fmac_f32_e32 v23, v42, v5
	v_fma_f32 v4, v42, v6, -v24
	s_waitcnt lgkmcnt(3)
	v_mul_f32_e32 v5, v37, v8
	v_mul_f32_e32 v6, v37, v7
	;; [unrolled: 1-line block ×3, first 2 shown]
	s_waitcnt lgkmcnt(2)
	v_mul_f32_e32 v25, v33, v12
	v_mul_f32_e32 v22, v39, v10
	v_fmac_f32_e32 v5, v36, v7
	v_fma_f32 v6, v36, v8, -v6
	s_waitcnt lgkmcnt(0)
	v_mul_f32_e32 v7, v31, v18
	v_mul_f32_e32 v8, v31, v17
	;; [unrolled: 1-line block ×4, first 2 shown]
	v_fma_f32 v24, v38, v10, -v24
	v_fmac_f32_e32 v25, v32, v11
	v_mul_f32_e32 v10, v29, v16
	v_mul_f32_e32 v11, v29, v15
	v_fmac_f32_e32 v7, v30, v17
	v_fma_f32 v8, v30, v18, -v8
	v_fmac_f32_e32 v22, v38, v9
	v_fma_f32 v26, v32, v12, -v26
	v_fmac_f32_e32 v27, v34, v13
	v_mul_f32_e32 v9, v35, v13
	v_fmac_f32_e32 v10, v28, v15
	v_fma_f32 v11, v28, v16, -v11
	v_sub_f32_e32 v13, v21, v7
	v_sub_f32_e32 v15, v3, v8
	v_add_f32_e32 v16, v21, v7
	v_add_f32_e32 v21, v3, v8
	v_fma_f32 v9, v34, v14, -v9
	v_sub_f32_e32 v17, v23, v10
	v_sub_f32_e32 v18, v4, v11
	v_mul_f32_e32 v12, 0x3f248dbb, v13
	v_mul_f32_e32 v7, 0x3f248dbb, v15
	v_add_f32_e32 v23, v23, v10
	v_add_f32_e32 v30, v4, v11
	v_fmamk_f32 v3, v16, 0x3f441b7d, v19
	v_fmamk_f32 v4, v21, 0x3f441b7d, v20
	v_sub_f32_e32 v31, v24, v26
	v_add_f32_e32 v33, v22, v25
	v_sub_f32_e32 v28, v5, v27
	v_sub_f32_e32 v29, v6, v9
	v_fmac_f32_e32 v12, 0x3f7c1c5c, v17
	v_fmac_f32_e32 v7, 0x3f7c1c5c, v18
	v_add_f32_e32 v27, v5, v27
	v_sub_f32_e32 v14, v22, v25
	v_add_f32_e32 v32, v6, v9
	v_fmac_f32_e32 v3, 0x3e31d0d4, v23
	v_fmac_f32_e32 v4, 0x3e31d0d4, v30
	v_mul_f32_e32 v9, 0xbf248dbb, v31
	v_fmamk_f32 v6, v33, 0x3f441b7d, v19
	v_fmac_f32_e32 v12, 0x3f5db3d7, v28
	v_fmac_f32_e32 v7, 0x3f5db3d7, v29
	v_fmac_f32_e32 v3, -0.5, v27
	v_fmac_f32_e32 v4, -0.5, v32
	v_add_f32_e32 v34, v24, v26
	v_fmac_f32_e32 v9, 0x3f7c1c5c, v15
	v_fmac_f32_e32 v6, 0x3e31d0d4, v16
	v_add_f32_e32 v11, v14, v13
	v_add_f32_e32 v35, v30, v21
	v_fmac_f32_e32 v12, 0x3eaf1d44, v14
	v_fmac_f32_e32 v7, 0x3eaf1d44, v31
	;; [unrolled: 1-line block ×5, first 2 shown]
	v_fmac_f32_e32 v6, -0.5, v27
	v_sub_f32_e32 v36, v11, v17
	v_add_f32_e32 v11, v32, v35
	v_fmamk_f32 v8, v34, 0x3f441b7d, v20
	v_sub_f32_e32 v3, v3, v7
	v_fmac_f32_e32 v9, 0x3eaf1d44, v18
	v_fmac_f32_e32 v6, 0xbf708fb2, v23
	v_add_f32_e32 v4, v12, v4
	v_add_f32_e32 v24, v24, v11
	v_mul_f32_e32 v10, 0xbf248dbb, v14
	v_fmac_f32_e32 v8, 0x3e31d0d4, v21
	v_fma_f32 v5, 2.0, v7, v3
	v_sub_f32_e32 v7, v6, v9
	v_fma_f32 v6, -2.0, v12, v4
	v_add_f32_e32 v12, v31, v15
	v_add_f32_e32 v24, v26, v24
	v_fmac_f32_e32 v10, 0x3f7c1c5c, v13
	v_add_f32_e32 v26, v34, v35
	v_mul_f32_e32 v35, 0x3f7c1c5c, v14
	v_fmac_f32_e32 v8, -0.5, v32
	v_add_f32_e32 v37, v23, v16
	v_sub_f32_e32 v38, v12, v18
	v_add_f32_e32 v12, v32, v20
	v_mul_f32_e32 v31, 0x3f7c1c5c, v31
	v_add_f32_e32 v14, v24, v20
	v_fmamk_f32 v23, v23, 0x3f441b7d, v19
	v_fmac_f32_e32 v20, 0x3f441b7d, v30
	v_fmac_f32_e32 v10, 0xbf5db3d7, v28
	v_fma_f32 v24, 0xbf248dbb, v17, -v35
	v_fmac_f32_e32 v8, 0xbf708fb2, v30
	v_fma_f32 v30, 0xbf248dbb, v18, -v31
	v_fmac_f32_e32 v23, 0x3e31d0d4, v33
	v_fmac_f32_e32 v20, 0x3e31d0d4, v34
	;; [unrolled: 1-line block ×4, first 2 shown]
	v_add_f32_e32 v17, v27, v37
	v_fmac_f32_e32 v30, 0x3f5db3d7, v29
	v_fmac_f32_e32 v23, -0.5, v27
	v_fmac_f32_e32 v20, -0.5, v32
	v_add_f32_e32 v11, v27, v19
	v_add_f32_e32 v40, v33, v37
	v_fmac_f32_e32 v24, 0x3eaf1d44, v13
	v_add_f32_e32 v13, v22, v17
	v_fmac_f32_e32 v30, 0x3eaf1d44, v15
	v_fmac_f32_e32 v23, 0xbf708fb2, v16
	;; [unrolled: 1-line block ×3, first 2 shown]
	v_fmac_f32_e32 v11, -0.5, v40
	v_fmac_f32_e32 v12, -0.5, v26
	v_add_f32_e32 v13, v25, v13
	v_sub_f32_e32 v15, v23, v30
	v_add_f32_e32 v16, v24, v20
	v_add_f32_e32 v8, v10, v8
	v_mul_f32_e32 v39, 0x3f5db3d7, v36
	v_mul_f32_e32 v41, 0x3f5db3d7, v38
	v_fmac_f32_e32 v11, 0xbf5db3d7, v38
	v_fmac_f32_e32 v12, 0x3f5db3d7, v36
	v_add_f32_e32 v13, v13, v19
	v_add_nc_u32_e32 v21, 0x400, v93
	v_fma_f32 v19, 2.0, v30, v15
	v_fma_f32 v20, -2.0, v24, v16
	v_add_nc_u32_e32 v22, 0xc00, v93
	v_fma_f32 v9, 2.0, v9, v7
	v_fma_f32 v10, -2.0, v10, v8
	v_fma_f32 v17, 2.0, v41, v11
	v_fma_f32 v18, -2.0, v39, v12
	v_add_nc_u32_e32 v23, 0x1400, v93
	ds_write_b64 v93, v[13:14]
	ds_write_b64 v93, v[3:4] offset:952
	ds_write2_b64 v21, v[7:8], v[11:12] offset0:110 offset1:229
	ds_write2_b64 v22, v[15:16], v[19:20] offset0:92 offset1:211
	;; [unrolled: 1-line block ×3, first 2 shown]
	ds_write_b64 v93, v[5:6] offset:7616
	s_waitcnt lgkmcnt(0)
	s_barrier
	buffer_gl0_inv
	s_and_b32 exec_lo, exec_lo, vcc_lo
	s_cbranch_execz .LBB0_23
; %bb.22:
	global_load_dwordx2 v[3:4], v93, s[12:13]
	ds_read_b64 v[5:6], v93
	s_mov_b32 s0, 0x1e98801f
	s_mov_b32 s1, 0x3f4e9880
	v_mad_u64_u32 v[9:10], null, s4, v94, 0
	s_mul_i32 s2, s5, 0x1f8
	s_mul_i32 s3, s4, 0x1f8
	s_waitcnt vmcnt(0) lgkmcnt(0)
	v_mul_f32_e32 v7, v6, v4
	v_mul_f32_e32 v4, v5, v4
	v_fmac_f32_e32 v7, v5, v3
	v_fma_f32 v5, v3, v6, -v4
	v_cvt_f64_f32_e32 v[3:4], v7
	v_cvt_f64_f32_e32 v[5:6], v5
	v_mad_u64_u32 v[7:8], null, s6, v84, 0
	v_mad_u64_u32 v[11:12], null, s7, v84, v[8:9]
	;; [unrolled: 1-line block ×3, first 2 shown]
	v_mov_b32_e32 v8, v11
	s_mul_hi_u32 s5, s4, 0x1f8
	v_mul_f64 v[3:4], v[3:4], s[0:1]
	v_mul_f64 v[5:6], v[5:6], s[0:1]
	s_add_i32 s2, s5, s2
	v_add_co_u32 v13, s4, s12, v93
	v_mov_b32_e32 v10, v12
	v_add_co_ci_u32_e64 v14, null, s13, 0, s4
	v_cvt_f32_f64_e32 v3, v[3:4]
	v_cvt_f32_f64_e32 v4, v[5:6]
	v_lshlrev_b64 v[5:6], 3, v[7:8]
	v_lshlrev_b64 v[7:8], 3, v[9:10]
	v_add_co_u32 v5, vcc_lo, s14, v5
	v_add_co_ci_u32_e32 v6, vcc_lo, s15, v6, vcc_lo
	v_add_co_u32 v7, vcc_lo, v5, v7
	v_add_co_ci_u32_e32 v8, vcc_lo, v6, v8, vcc_lo
	global_store_dwordx2 v[7:8], v[3:4], off
	global_load_dwordx2 v[9:10], v93, s[12:13] offset:504
	ds_read2_b64 v[3:6], v93 offset0:63 offset1:126
	v_add_co_u32 v7, vcc_lo, v7, s3
	v_add_co_ci_u32_e32 v8, vcc_lo, s2, v8, vcc_lo
	s_waitcnt vmcnt(0) lgkmcnt(0)
	v_mul_f32_e32 v11, v4, v10
	v_mul_f32_e32 v10, v3, v10
	v_fmac_f32_e32 v11, v3, v9
	v_fma_f32 v9, v9, v4, -v10
	v_cvt_f64_f32_e32 v[3:4], v11
	v_cvt_f64_f32_e32 v[9:10], v9
	v_mul_f64 v[3:4], v[3:4], s[0:1]
	v_mul_f64 v[9:10], v[9:10], s[0:1]
	v_cvt_f32_f64_e32 v3, v[3:4]
	v_cvt_f32_f64_e32 v4, v[9:10]
	global_store_dwordx2 v[7:8], v[3:4], off
	global_load_dwordx2 v[3:4], v93, s[12:13] offset:1008
	v_add_co_u32 v7, vcc_lo, v7, s3
	v_add_co_ci_u32_e32 v8, vcc_lo, s2, v8, vcc_lo
	s_waitcnt vmcnt(0)
	v_mul_f32_e32 v9, v6, v4
	v_mul_f32_e32 v4, v5, v4
	v_fmac_f32_e32 v9, v5, v3
	v_fma_f32 v5, v3, v6, -v4
	v_cvt_f64_f32_e32 v[3:4], v9
	v_cvt_f64_f32_e32 v[5:6], v5
	v_mul_f64 v[3:4], v[3:4], s[0:1]
	v_mul_f64 v[5:6], v[5:6], s[0:1]
	v_cvt_f32_f64_e32 v3, v[3:4]
	v_cvt_f32_f64_e32 v4, v[5:6]
	global_store_dwordx2 v[7:8], v[3:4], off
	global_load_dwordx2 v[9:10], v93, s[12:13] offset:1512
	ds_read2_b64 v[3:6], v93 offset0:189 offset1:252
	v_add_co_u32 v7, vcc_lo, v7, s3
	v_add_co_ci_u32_e32 v8, vcc_lo, s2, v8, vcc_lo
	s_waitcnt vmcnt(0) lgkmcnt(0)
	v_mul_f32_e32 v11, v4, v10
	v_mul_f32_e32 v10, v3, v10
	v_fmac_f32_e32 v11, v3, v9
	v_fma_f32 v9, v9, v4, -v10
	v_cvt_f64_f32_e32 v[3:4], v11
	v_cvt_f64_f32_e32 v[9:10], v9
	v_mul_f64 v[3:4], v[3:4], s[0:1]
	v_mul_f64 v[9:10], v[9:10], s[0:1]
	v_cvt_f32_f64_e32 v3, v[3:4]
	v_cvt_f32_f64_e32 v4, v[9:10]
	global_store_dwordx2 v[7:8], v[3:4], off
	global_load_dwordx2 v[3:4], v93, s[12:13] offset:2016
	v_add_co_u32 v7, vcc_lo, v7, s3
	v_add_co_ci_u32_e32 v8, vcc_lo, s2, v8, vcc_lo
	s_waitcnt vmcnt(0)
	v_mul_f32_e32 v9, v6, v4
	v_mul_f32_e32 v4, v5, v4
	v_fmac_f32_e32 v9, v5, v3
	v_fma_f32 v5, v3, v6, -v4
	v_cvt_f64_f32_e32 v[3:4], v9
	v_cvt_f64_f32_e32 v[5:6], v5
	v_add_co_u32 v9, vcc_lo, 0x800, v13
	v_add_co_ci_u32_e32 v10, vcc_lo, 0, v14, vcc_lo
	v_mul_f64 v[3:4], v[3:4], s[0:1]
	v_mul_f64 v[5:6], v[5:6], s[0:1]
	v_cvt_f32_f64_e32 v3, v[3:4]
	v_cvt_f32_f64_e32 v4, v[5:6]
	global_store_dwordx2 v[7:8], v[3:4], off
	global_load_dwordx2 v[11:12], v[9:10], off offset:472
	ds_read2_b64 v[3:6], v2 offset0:59 offset1:122
	v_add_co_u32 v7, vcc_lo, v7, s3
	v_add_co_ci_u32_e32 v8, vcc_lo, s2, v8, vcc_lo
	s_waitcnt vmcnt(0) lgkmcnt(0)
	v_mul_f32_e32 v15, v4, v12
	v_mul_f32_e32 v12, v3, v12
	v_fmac_f32_e32 v15, v3, v11
	v_fma_f32 v11, v11, v4, -v12
	v_cvt_f64_f32_e32 v[3:4], v15
	v_cvt_f64_f32_e32 v[11:12], v11
	v_mul_f64 v[3:4], v[3:4], s[0:1]
	v_mul_f64 v[11:12], v[11:12], s[0:1]
	v_cvt_f32_f64_e32 v3, v[3:4]
	v_cvt_f32_f64_e32 v4, v[11:12]
	global_store_dwordx2 v[7:8], v[3:4], off
	global_load_dwordx2 v[3:4], v[9:10], off offset:976
	s_waitcnt vmcnt(0)
	v_mul_f32_e32 v11, v6, v4
	v_mul_f32_e32 v4, v5, v4
	v_fmac_f32_e32 v11, v5, v3
	v_fma_f32 v5, v3, v6, -v4
	v_cvt_f64_f32_e32 v[3:4], v11
	v_cvt_f64_f32_e32 v[5:6], v5
	v_mul_f64 v[3:4], v[3:4], s[0:1]
	v_mul_f64 v[5:6], v[5:6], s[0:1]
	v_cvt_f32_f64_e32 v3, v[3:4]
	v_cvt_f32_f64_e32 v4, v[5:6]
	v_add_co_u32 v6, vcc_lo, v7, s3
	v_add_co_ci_u32_e32 v7, vcc_lo, s2, v8, vcc_lo
	global_store_dwordx2 v[6:7], v[3:4], off
	global_load_dwordx2 v[11:12], v[9:10], off offset:1480
	ds_read2_b64 v[2:5], v2 offset0:185 offset1:248
	v_add_co_u32 v6, vcc_lo, v6, s3
	v_add_co_ci_u32_e32 v7, vcc_lo, s2, v7, vcc_lo
	s_waitcnt vmcnt(0) lgkmcnt(0)
	v_mul_f32_e32 v8, v3, v12
	v_mul_f32_e32 v12, v2, v12
	v_fmac_f32_e32 v8, v2, v11
	v_fma_f32 v11, v11, v3, -v12
	v_cvt_f64_f32_e32 v[2:3], v8
	v_cvt_f64_f32_e32 v[11:12], v11
	v_mul_f64 v[2:3], v[2:3], s[0:1]
	v_mul_f64 v[11:12], v[11:12], s[0:1]
	v_cvt_f32_f64_e32 v2, v[2:3]
	v_cvt_f32_f64_e32 v3, v[11:12]
	global_store_dwordx2 v[6:7], v[2:3], off
	global_load_dwordx2 v[2:3], v[9:10], off offset:1984
	v_add_co_u32 v6, vcc_lo, v6, s3
	v_add_co_ci_u32_e32 v7, vcc_lo, s2, v7, vcc_lo
	s_waitcnt vmcnt(0)
	v_mul_f32_e32 v8, v5, v3
	v_mul_f32_e32 v3, v4, v3
	v_fmac_f32_e32 v8, v4, v2
	v_fma_f32 v4, v2, v5, -v3
	v_cvt_f64_f32_e32 v[2:3], v8
	v_cvt_f64_f32_e32 v[4:5], v4
	v_add_co_u32 v8, vcc_lo, 0x1000, v13
	v_add_co_ci_u32_e32 v9, vcc_lo, 0, v14, vcc_lo
	v_mul_f64 v[2:3], v[2:3], s[0:1]
	v_mul_f64 v[4:5], v[4:5], s[0:1]
	v_cvt_f32_f64_e32 v2, v[2:3]
	v_cvt_f32_f64_e32 v3, v[4:5]
	global_store_dwordx2 v[6:7], v[2:3], off
	global_load_dwordx2 v[10:11], v[8:9], off offset:440
	ds_read2_b64 v[2:5], v1 offset0:55 offset1:118
	v_add_co_u32 v6, vcc_lo, v6, s3
	v_add_co_ci_u32_e32 v7, vcc_lo, s2, v7, vcc_lo
	s_waitcnt vmcnt(0) lgkmcnt(0)
	v_mul_f32_e32 v12, v3, v11
	v_mul_f32_e32 v11, v2, v11
	v_fmac_f32_e32 v12, v2, v10
	v_fma_f32 v10, v10, v3, -v11
	v_cvt_f64_f32_e32 v[2:3], v12
	v_cvt_f64_f32_e32 v[10:11], v10
	v_mul_f64 v[2:3], v[2:3], s[0:1]
	v_mul_f64 v[10:11], v[10:11], s[0:1]
	v_cvt_f32_f64_e32 v2, v[2:3]
	v_cvt_f32_f64_e32 v3, v[10:11]
	global_store_dwordx2 v[6:7], v[2:3], off
	global_load_dwordx2 v[2:3], v[8:9], off offset:944
	s_waitcnt vmcnt(0)
	v_mul_f32_e32 v10, v5, v3
	v_mul_f32_e32 v3, v4, v3
	v_fmac_f32_e32 v10, v4, v2
	v_fma_f32 v4, v2, v5, -v3
	v_cvt_f64_f32_e32 v[2:3], v10
	v_cvt_f64_f32_e32 v[4:5], v4
	v_mul_f64 v[2:3], v[2:3], s[0:1]
	v_mul_f64 v[4:5], v[4:5], s[0:1]
	v_cvt_f32_f64_e32 v2, v[2:3]
	v_cvt_f32_f64_e32 v3, v[4:5]
	v_add_co_u32 v5, vcc_lo, v6, s3
	v_add_co_ci_u32_e32 v6, vcc_lo, s2, v7, vcc_lo
	global_store_dwordx2 v[5:6], v[2:3], off
	global_load_dwordx2 v[10:11], v[8:9], off offset:1448
	ds_read2_b64 v[1:4], v1 offset0:181 offset1:244
	v_add_co_u32 v5, vcc_lo, v5, s3
	v_add_co_ci_u32_e32 v6, vcc_lo, s2, v6, vcc_lo
	s_waitcnt vmcnt(0) lgkmcnt(0)
	v_mul_f32_e32 v7, v2, v11
	v_mul_f32_e32 v11, v1, v11
	v_fmac_f32_e32 v7, v1, v10
	v_fma_f32 v10, v10, v2, -v11
	v_cvt_f64_f32_e32 v[1:2], v7
	v_cvt_f64_f32_e32 v[10:11], v10
	v_mul_f64 v[1:2], v[1:2], s[0:1]
	v_mul_f64 v[10:11], v[10:11], s[0:1]
	v_cvt_f32_f64_e32 v1, v[1:2]
	v_cvt_f32_f64_e32 v2, v[10:11]
	global_store_dwordx2 v[5:6], v[1:2], off
	global_load_dwordx2 v[1:2], v[8:9], off offset:1952
	;; [unrolled: 64-line block ×3, first 2 shown]
	s_waitcnt vmcnt(0)
	v_mul_f32_e32 v6, v3, v1
	v_mul_f32_e32 v1, v2, v1
	v_fmac_f32_e32 v6, v2, v0
	v_fma_f32 v2, v0, v3, -v1
	v_cvt_f64_f32_e32 v[0:1], v6
	v_cvt_f64_f32_e32 v[2:3], v2
	v_mul_f64 v[0:1], v[0:1], s[0:1]
	v_mul_f64 v[2:3], v[2:3], s[0:1]
	v_cvt_f32_f64_e32 v0, v[0:1]
	v_cvt_f32_f64_e32 v1, v[2:3]
	v_add_co_u32 v2, vcc_lo, v4, s3
	v_add_co_ci_u32_e32 v3, vcc_lo, s2, v5, vcc_lo
	global_store_dwordx2 v[2:3], v[0:1], off
.LBB0_23:
	s_endpgm
	.section	.rodata,"a",@progbits
	.p2align	6, 0x0
	.amdhsa_kernel bluestein_single_back_len1071_dim1_sp_op_CI_CI
		.amdhsa_group_segment_fixed_size 8568
		.amdhsa_private_segment_fixed_size 0
		.amdhsa_kernarg_size 104
		.amdhsa_user_sgpr_count 6
		.amdhsa_user_sgpr_private_segment_buffer 1
		.amdhsa_user_sgpr_dispatch_ptr 0
		.amdhsa_user_sgpr_queue_ptr 0
		.amdhsa_user_sgpr_kernarg_segment_ptr 1
		.amdhsa_user_sgpr_dispatch_id 0
		.amdhsa_user_sgpr_flat_scratch_init 0
		.amdhsa_user_sgpr_private_segment_size 0
		.amdhsa_wavefront_size32 1
		.amdhsa_uses_dynamic_stack 0
		.amdhsa_system_sgpr_private_segment_wavefront_offset 0
		.amdhsa_system_sgpr_workgroup_id_x 1
		.amdhsa_system_sgpr_workgroup_id_y 0
		.amdhsa_system_sgpr_workgroup_id_z 0
		.amdhsa_system_sgpr_workgroup_info 0
		.amdhsa_system_vgpr_workitem_id 0
		.amdhsa_next_free_vgpr 240
		.amdhsa_next_free_sgpr 16
		.amdhsa_reserve_vcc 1
		.amdhsa_reserve_flat_scratch 0
		.amdhsa_float_round_mode_32 0
		.amdhsa_float_round_mode_16_64 0
		.amdhsa_float_denorm_mode_32 3
		.amdhsa_float_denorm_mode_16_64 3
		.amdhsa_dx10_clamp 1
		.amdhsa_ieee_mode 1
		.amdhsa_fp16_overflow 0
		.amdhsa_workgroup_processor_mode 1
		.amdhsa_memory_ordered 1
		.amdhsa_forward_progress 0
		.amdhsa_shared_vgpr_count 0
		.amdhsa_exception_fp_ieee_invalid_op 0
		.amdhsa_exception_fp_denorm_src 0
		.amdhsa_exception_fp_ieee_div_zero 0
		.amdhsa_exception_fp_ieee_overflow 0
		.amdhsa_exception_fp_ieee_underflow 0
		.amdhsa_exception_fp_ieee_inexact 0
		.amdhsa_exception_int_div_zero 0
	.end_amdhsa_kernel
	.text
.Lfunc_end0:
	.size	bluestein_single_back_len1071_dim1_sp_op_CI_CI, .Lfunc_end0-bluestein_single_back_len1071_dim1_sp_op_CI_CI
                                        ; -- End function
	.section	.AMDGPU.csdata,"",@progbits
; Kernel info:
; codeLenInByte = 19460
; NumSgprs: 18
; NumVgprs: 240
; ScratchSize: 0
; MemoryBound: 0
; FloatMode: 240
; IeeeMode: 1
; LDSByteSize: 8568 bytes/workgroup (compile time only)
; SGPRBlocks: 2
; VGPRBlocks: 29
; NumSGPRsForWavesPerEU: 18
; NumVGPRsForWavesPerEU: 240
; Occupancy: 4
; WaveLimiterHint : 1
; COMPUTE_PGM_RSRC2:SCRATCH_EN: 0
; COMPUTE_PGM_RSRC2:USER_SGPR: 6
; COMPUTE_PGM_RSRC2:TRAP_HANDLER: 0
; COMPUTE_PGM_RSRC2:TGID_X_EN: 1
; COMPUTE_PGM_RSRC2:TGID_Y_EN: 0
; COMPUTE_PGM_RSRC2:TGID_Z_EN: 0
; COMPUTE_PGM_RSRC2:TIDIG_COMP_CNT: 0
	.text
	.p2alignl 6, 3214868480
	.fill 48, 4, 3214868480
	.type	__hip_cuid_fe992aec4a865590,@object ; @__hip_cuid_fe992aec4a865590
	.section	.bss,"aw",@nobits
	.globl	__hip_cuid_fe992aec4a865590
__hip_cuid_fe992aec4a865590:
	.byte	0                               ; 0x0
	.size	__hip_cuid_fe992aec4a865590, 1

	.ident	"AMD clang version 19.0.0git (https://github.com/RadeonOpenCompute/llvm-project roc-6.4.0 25133 c7fe45cf4b819c5991fe208aaa96edf142730f1d)"
	.section	".note.GNU-stack","",@progbits
	.addrsig
	.addrsig_sym __hip_cuid_fe992aec4a865590
	.amdgpu_metadata
---
amdhsa.kernels:
  - .args:
      - .actual_access:  read_only
        .address_space:  global
        .offset:         0
        .size:           8
        .value_kind:     global_buffer
      - .actual_access:  read_only
        .address_space:  global
        .offset:         8
        .size:           8
        .value_kind:     global_buffer
      - .actual_access:  read_only
        .address_space:  global
        .offset:         16
        .size:           8
        .value_kind:     global_buffer
      - .actual_access:  read_only
        .address_space:  global
        .offset:         24
        .size:           8
        .value_kind:     global_buffer
      - .actual_access:  read_only
        .address_space:  global
        .offset:         32
        .size:           8
        .value_kind:     global_buffer
      - .offset:         40
        .size:           8
        .value_kind:     by_value
      - .address_space:  global
        .offset:         48
        .size:           8
        .value_kind:     global_buffer
      - .address_space:  global
        .offset:         56
        .size:           8
        .value_kind:     global_buffer
      - .address_space:  global
        .offset:         64
        .size:           8
        .value_kind:     global_buffer
      - .address_space:  global
        .offset:         72
        .size:           8
        .value_kind:     global_buffer
      - .offset:         80
        .size:           4
        .value_kind:     by_value
      - .address_space:  global
        .offset:         88
        .size:           8
        .value_kind:     global_buffer
      - .address_space:  global
        .offset:         96
        .size:           8
        .value_kind:     global_buffer
    .group_segment_fixed_size: 8568
    .kernarg_segment_align: 8
    .kernarg_segment_size: 104
    .language:       OpenCL C
    .language_version:
      - 2
      - 0
    .max_flat_workgroup_size: 119
    .name:           bluestein_single_back_len1071_dim1_sp_op_CI_CI
    .private_segment_fixed_size: 0
    .sgpr_count:     18
    .sgpr_spill_count: 0
    .symbol:         bluestein_single_back_len1071_dim1_sp_op_CI_CI.kd
    .uniform_work_group_size: 1
    .uses_dynamic_stack: false
    .vgpr_count:     240
    .vgpr_spill_count: 0
    .wavefront_size: 32
    .workgroup_processor_mode: 1
amdhsa.target:   amdgcn-amd-amdhsa--gfx1030
amdhsa.version:
  - 1
  - 2
...

	.end_amdgpu_metadata
